;; amdgpu-corpus repo=ROCm/rocFFT kind=compiled arch=gfx1201 opt=O3
	.text
	.amdgcn_target "amdgcn-amd-amdhsa--gfx1201"
	.amdhsa_code_object_version 6
	.protected	fft_rtc_fwd_len4096_factors_8_16_4_8_wgs_256_tpt_128_halfLds_dim3_sp_op_CI_CI_unitstride_sbrr_dirReg ; -- Begin function fft_rtc_fwd_len4096_factors_8_16_4_8_wgs_256_tpt_128_halfLds_dim3_sp_op_CI_CI_unitstride_sbrr_dirReg
	.globl	fft_rtc_fwd_len4096_factors_8_16_4_8_wgs_256_tpt_128_halfLds_dim3_sp_op_CI_CI_unitstride_sbrr_dirReg
	.p2align	8
	.type	fft_rtc_fwd_len4096_factors_8_16_4_8_wgs_256_tpt_128_halfLds_dim3_sp_op_CI_CI_unitstride_sbrr_dirReg,@function
fft_rtc_fwd_len4096_factors_8_16_4_8_wgs_256_tpt_128_halfLds_dim3_sp_op_CI_CI_unitstride_sbrr_dirReg: ; @fft_rtc_fwd_len4096_factors_8_16_4_8_wgs_256_tpt_128_halfLds_dim3_sp_op_CI_CI_unitstride_sbrr_dirReg
; %bb.0:
	s_load_b64 s[4:5], s[0:1], 0x8
	v_dual_mov_b32 v4, 0 :: v_dual_mov_b32 v1, 0
	v_lshrrev_b32_e32 v102, 7, v0
	v_mov_b32_e32 v2, 0
	s_mov_b32 s6, exec_lo
	s_delay_alu instid0(VALU_DEP_2) | instskip(NEXT) | instid1(VALU_DEP_2)
	v_lshl_or_b32 v3, ttmp9, 1, v102
	v_dual_mov_b32 v6, v2 :: v_dual_mov_b32 v5, v1
	s_wait_kmcnt 0x0
	s_load_b64 s[2:3], s[4:5], 0x8
	s_wait_kmcnt 0x0
	v_cmpx_le_u64_e64 s[2:3], v[3:4]
	s_cbranch_execz .LBB0_2
; %bb.1:
	v_cvt_f32_u32_e32 v5, s2
	s_sub_co_i32 s7, 0, s2
	s_delay_alu instid0(VALU_DEP_1) | instskip(NEXT) | instid1(TRANS32_DEP_1)
	v_rcp_iflag_f32_e32 v5, v5
	v_mul_f32_e32 v5, 0x4f7ffffe, v5
	s_delay_alu instid0(VALU_DEP_1) | instskip(NEXT) | instid1(VALU_DEP_1)
	v_cvt_u32_f32_e32 v5, v5
	v_mul_lo_u32 v6, s7, v5
	s_delay_alu instid0(VALU_DEP_1) | instskip(NEXT) | instid1(VALU_DEP_1)
	v_mul_hi_u32 v6, v5, v6
	v_add_nc_u32_e32 v5, v5, v6
	s_delay_alu instid0(VALU_DEP_1) | instskip(NEXT) | instid1(VALU_DEP_1)
	v_mul_hi_u32 v5, v3, v5
	v_mul_lo_u32 v6, v5, s2
	v_add_nc_u32_e32 v7, 1, v5
	s_delay_alu instid0(VALU_DEP_2) | instskip(NEXT) | instid1(VALU_DEP_1)
	v_sub_nc_u32_e32 v6, v3, v6
	v_subrev_nc_u32_e32 v8, s2, v6
	v_cmp_le_u32_e32 vcc_lo, s2, v6
	s_delay_alu instid0(VALU_DEP_2) | instskip(NEXT) | instid1(VALU_DEP_1)
	v_dual_cndmask_b32 v6, v6, v8 :: v_dual_cndmask_b32 v5, v5, v7
	v_cmp_le_u32_e32 vcc_lo, s2, v6
	s_delay_alu instid0(VALU_DEP_2) | instskip(SKIP_1) | instid1(VALU_DEP_1)
	v_dual_mov_b32 v6, v4 :: v_dual_add_nc_u32 v7, 1, v5
	s_wait_alu 0xfffd
	v_cndmask_b32_e32 v5, v5, v7, vcc_lo
.LBB0_2:
	s_or_b32 exec_lo, exec_lo, s6
	s_load_b64 s[8:9], s[4:5], 0x10
	s_mov_b32 s4, exec_lo
	s_wait_kmcnt 0x0
	v_cmpx_le_u64_e64 s[8:9], v[5:6]
	s_cbranch_execz .LBB0_4
; %bb.3:
	v_cvt_f32_u32_e32 v1, s8
	s_sub_co_i32 s5, 0, s8
	s_delay_alu instid0(VALU_DEP_1) | instskip(NEXT) | instid1(TRANS32_DEP_1)
	v_rcp_iflag_f32_e32 v1, v1
	v_mul_f32_e32 v1, 0x4f7ffffe, v1
	s_delay_alu instid0(VALU_DEP_1) | instskip(NEXT) | instid1(VALU_DEP_1)
	v_cvt_u32_f32_e32 v1, v1
	v_mul_lo_u32 v2, s5, v1
	s_delay_alu instid0(VALU_DEP_1) | instskip(NEXT) | instid1(VALU_DEP_1)
	v_mul_hi_u32 v2, v1, v2
	v_add_nc_u32_e32 v1, v1, v2
	s_delay_alu instid0(VALU_DEP_1) | instskip(NEXT) | instid1(VALU_DEP_1)
	v_mul_hi_u32 v1, v5, v1
	v_mul_lo_u32 v2, v1, s8
	v_add_nc_u32_e32 v4, 1, v1
	s_delay_alu instid0(VALU_DEP_2) | instskip(NEXT) | instid1(VALU_DEP_1)
	v_sub_nc_u32_e32 v2, v5, v2
	v_subrev_nc_u32_e32 v7, s8, v2
	v_cmp_le_u32_e32 vcc_lo, s8, v2
	s_wait_alu 0xfffd
	s_delay_alu instid0(VALU_DEP_2) | instskip(NEXT) | instid1(VALU_DEP_1)
	v_dual_cndmask_b32 v2, v2, v7 :: v_dual_cndmask_b32 v1, v1, v4
	v_cmp_le_u32_e32 vcc_lo, s8, v2
	v_mov_b32_e32 v2, 0
	s_delay_alu instid0(VALU_DEP_3) | instskip(SKIP_1) | instid1(VALU_DEP_1)
	v_add_nc_u32_e32 v4, 1, v1
	s_wait_alu 0xfffd
	v_cndmask_b32_e32 v1, v1, v4, vcc_lo
.LBB0_4:
	s_or_b32 exec_lo, exec_lo, s4
	v_mad_co_u64_u32 v[7:8], null, v5, s2, 0
	s_load_b128 s[4:7], s[0:1], 0x18
	s_delay_alu instid0(VALU_DEP_2)
	v_mad_co_u64_u32 v[9:10], null, v1, s8, 0
	v_and_b32_e32 v66, 0x7f, v0
	v_or_b32_e32 v77, 0x380, v0
	v_or_b32_e32 v76, 0x780, v0
	v_mov_b32_e32 v4, v8
	v_or_b32_e32 v75, 0xb80, v0
	v_or_b32_e32 v74, 0xf80, v0
	v_mov_b32_e32 v8, v10
                                        ; implicit-def: $vgpr71
                                        ; implicit-def: $vgpr72
                                        ; implicit-def: $vgpr73
                                        ; implicit-def: $vgpr88
                                        ; implicit-def: $vgpr96
                                        ; implicit-def: $vgpr100
                                        ; implicit-def: $vgpr85
                                        ; implicit-def: $vgpr93
                                        ; implicit-def: $vgpr99
                                        ; implicit-def: $vgpr101
                                        ; implicit-def: $vgpr82
                                        ; implicit-def: $vgpr90
                                        ; implicit-def: $vgpr97
                                        ; implicit-def: $vgpr83
                                        ; implicit-def: $vgpr86
                                        ; implicit-def: $vgpr95
                                        ; implicit-def: $vgpr98
                                        ; implicit-def: $vgpr80
                                        ; implicit-def: $vgpr87
                                        ; implicit-def: $vgpr91
                                        ; implicit-def: $vgpr79
                                        ; implicit-def: $vgpr84
                                        ; implicit-def: $vgpr92
                                        ; implicit-def: $vgpr94
                                        ; implicit-def: $vgpr78
                                        ; implicit-def: $vgpr81
                                        ; implicit-def: $vgpr89
	s_delay_alu instid0(VALU_DEP_4) | instskip(SKIP_1) | instid1(VALU_DEP_3)
	v_mad_co_u64_u32 v[10:11], null, v5, s3, v[4:5]
	v_sub_co_u32 v67, s3, v3, v7
	v_mad_co_u64_u32 v[11:12], null, v1, s9, v[8:9]
	s_load_b64 s[8:9], s[0:1], 0x0
	s_wait_kmcnt 0x0
	v_cmp_gt_u64_e32 vcc_lo, s[6:7], v[1:2]
	v_cmp_le_u64_e64 s2, s[6:7], v[1:2]
	v_mov_b32_e32 v2, v10
	s_delay_alu instid0(VALU_DEP_4) | instskip(NEXT) | instid1(VALU_DEP_2)
	v_mov_b32_e32 v4, v11
                                        ; implicit-def: $sgpr6_sgpr7
	v_sub_co_ci_u32_e64 v68, s3, 0, v2, s3
	v_sub_co_u32 v69, s3, v5, v9
	s_wait_alu 0xf1ff
	s_delay_alu instid0(VALU_DEP_3)
	v_sub_co_ci_u32_e64 v70, s3, v6, v4, s3
	s_and_saveexec_b32 s3, s2
	s_wait_alu 0xfffe
	s_xor_b32 s2, exec_lo, s3
	s_cbranch_execz .LBB0_6
; %bb.5:
	v_and_b32_e32 v66, 0x7f, v0
	v_or_b32_e32 v77, 0x380, v0
	v_or_b32_e32 v76, 0x780, v0
	;; [unrolled: 1-line block ×31, first 2 shown]
	s_mov_b64 s[6:7], 0
.LBB0_6:
	s_wait_alu 0xfffe
	s_or_saveexec_b32 s10, s2
	v_dual_mov_b32 v43, s7 :: v_dual_mov_b32 v42, s6
	v_dual_mov_b32 v55, s7 :: v_dual_mov_b32 v54, s6
	v_dual_mov_b32 v53, s7 :: v_dual_mov_b32 v52, s6
	v_dual_mov_b32 v57, s7 :: v_dual_mov_b32 v56, s6
	v_dual_mov_b32 v41, s7 :: v_dual_mov_b32 v40, s6
	v_dual_mov_b32 v39, s7 :: v_dual_mov_b32 v38, s6
	v_dual_mov_b32 v37, s7 :: v_dual_mov_b32 v36, s6
	v_dual_mov_b32 v35, s7 :: v_dual_mov_b32 v34, s6
	v_dual_mov_b32 v25, s7 :: v_dual_mov_b32 v24, s6
	v_dual_mov_b32 v23, s7 :: v_dual_mov_b32 v22, s6
	v_dual_mov_b32 v21, s7 :: v_dual_mov_b32 v20, s6
	v_dual_mov_b32 v19, s7 :: v_dual_mov_b32 v18, s6
	v_dual_mov_b32 v9, s7 :: v_dual_mov_b32 v8, s6
	v_dual_mov_b32 v4, s6 :: v_dual_mov_b32 v5, s7
	v_dual_mov_b32 v6, s6 :: v_dual_mov_b32 v7, s7
	v_dual_mov_b32 v2, s6 :: v_dual_mov_b32 v3, s7
                                        ; implicit-def: $vgpr59
                                        ; implicit-def: $vgpr63
                                        ; implicit-def: $vgpr61
                                        ; implicit-def: $vgpr65
                                        ; implicit-def: $vgpr45
                                        ; implicit-def: $vgpr49
                                        ; implicit-def: $vgpr47
                                        ; implicit-def: $vgpr33
                                        ; implicit-def: $vgpr29
                                        ; implicit-def: $vgpr31
                                        ; implicit-def: $vgpr27
                                        ; implicit-def: $vgpr17
                                        ; implicit-def: $vgpr13
                                        ; implicit-def: $vgpr15
                                        ; implicit-def: $vgpr11
                                        ; implicit-def: $vgpr51
	s_xor_b32 exec_lo, exec_lo, s10
	s_cbranch_execz .LBB0_8
; %bb.7:
	s_clause 0x1
	s_load_b64 s[6:7], s[0:1], 0x10
	s_load_b64 s[2:3], s[0:1], 0x50
	v_lshlrev_b32_e32 v12, 3, v66
	v_lshlrev_b32_e32 v13, 3, v75
	;; [unrolled: 1-line block ×3, first 2 shown]
	v_or_b32_e32 v88, 0x200, v66
	v_or_b32_e32 v85, 0x400, v66
	;; [unrolled: 1-line block ×15, first 2 shown]
	s_wait_kmcnt 0x0
	s_clause 0x1
	s_load_b64 s[16:17], s[6:7], 0x18
	s_load_b128 s[12:15], s[6:7], 0x8
	v_or_b32_e32 v99, 0x500, v66
	v_or_b32_e32 v97, 0x700, v66
	;; [unrolled: 1-line block ×10, first 2 shown]
	s_wait_kmcnt 0x0
	v_mad_co_u64_u32 v[2:3], null, s16, v1, 0
	v_mul_lo_u32 v8, s15, v69
	v_mul_lo_u32 v9, s14, v70
	v_mul_lo_u32 v10, s13, v67
	v_mul_lo_u32 v11, s12, v68
	v_mad_co_u64_u32 v[6:7], null, s12, v67, 0
	v_mad_co_u64_u32 v[3:4], null, s17, v1, v[3:4]
	;; [unrolled: 1-line block ×3, first 2 shown]
	s_delay_alu instid0(VALU_DEP_3) | instskip(NEXT) | instid1(VALU_DEP_3)
	v_add3_u32 v7, v7, v11, v10
	v_lshlrev_b64_e32 v[2:3], 3, v[2:3]
	s_delay_alu instid0(VALU_DEP_3) | instskip(SKIP_2) | instid1(VALU_DEP_4)
	v_add3_u32 v5, v5, v9, v8
	v_lshlrev_b32_e32 v8, 3, v77
	v_lshlrev_b32_e32 v9, 3, v76
	v_add_co_u32 v10, s2, s2, v2
	s_delay_alu instid0(VALU_DEP_4) | instskip(SKIP_3) | instid1(VALU_DEP_3)
	v_lshlrev_b64_e32 v[4:5], 3, v[4:5]
	s_wait_alu 0xf1ff
	v_add_co_ci_u32_e64 v11, s2, s3, v3, s2
	v_lshlrev_b64_e32 v[2:3], 3, v[6:7]
	v_add_co_u32 v4, s2, v10, v4
	s_wait_alu 0xf1ff
	s_delay_alu instid0(VALU_DEP_3) | instskip(NEXT) | instid1(VALU_DEP_2)
	v_add_co_ci_u32_e64 v5, s2, v11, v5, s2
	v_add_co_u32 v4, s2, v4, v2
	s_wait_alu 0xf1ff
	s_delay_alu instid0(VALU_DEP_2) | instskip(NEXT) | instid1(VALU_DEP_2)
	v_add_co_ci_u32_e64 v5, s2, v5, v3, s2
	v_add_co_u32 v2, s2, v4, v12
	s_wait_alu 0xf1ff
	s_delay_alu instid0(VALU_DEP_2)
	v_add_co_ci_u32_e64 v3, s2, 0, v5, s2
	v_add_co_u32 v6, s2, v4, v8
	s_wait_alu 0xf1ff
	v_add_co_ci_u32_e64 v7, s2, 0, v5, s2
	v_add_co_u32 v10, s2, v4, v9
	s_wait_alu 0xf1ff
	;; [unrolled: 3-line block ×4, first 2 shown]
	v_add_co_ci_u32_e64 v72, s2, 0, v5, s2
	s_clause 0x1f
	global_load_b64 v[52:53], v[2:3], off offset:4096
	global_load_b64 v[36:37], v[2:3], off offset:5120
	;; [unrolled: 1-line block ×16, first 2 shown]
	global_load_b64 v[42:43], v[2:3], off
	global_load_b64 v[40:41], v[2:3], off offset:1024
	global_load_b64 v[24:25], v[2:3], off offset:2048
	global_load_b64 v[8:9], v[2:3], off offset:3072
	global_load_b64 v[56:57], v[2:3], off offset:12288
	global_load_b64 v[4:5], v[2:3], off offset:11264
	global_load_b64 v[48:49], v[2:3], off offset:21504
	global_load_b64 v[62:63], v[2:3], off offset:20480
	global_load_b64 v[16:17], v[2:3], off offset:19456
	global_load_b64 v[50:51], v[2:3], off offset:29696
	global_load_b64 v[64:65], v[2:3], off offset:28672
	global_load_b64 v[14:15], v[2:3], off offset:27648
	global_load_b64 v[6:7], v[6:7], off
	global_load_b64 v[2:3], v[10:11], off
	;; [unrolled: 1-line block ×4, first 2 shown]
	v_or_b32_e32 v71, 0x80, v66
	v_or_b32_e32 v72, 0x100, v66
.LBB0_8:
	s_or_b32 exec_lo, exec_lo, s10
	s_wait_loadcnt 0xf
	v_dual_sub_f32 v58, v42, v58 :: v_dual_sub_f32 v59, v43, v59
	v_dual_sub_f32 v60, v54, v60 :: v_dual_sub_f32 v61, v55, v61
	s_wait_loadcnt 0x8
	v_dual_sub_f32 v62, v52, v62 :: v_dual_sub_f32 v63, v53, v63
	s_delay_alu instid0(VALU_DEP_3) | instskip(NEXT) | instid1(VALU_DEP_3)
	v_fma_f32 v42, v42, 2.0, -v58
	v_fma_f32 v54, v54, 2.0, -v60
	s_wait_loadcnt 0x5
	v_dual_sub_f32 v64, v56, v64 :: v_dual_sub_f32 v65, v57, v65
	v_fma_f32 v43, v43, 2.0, -v59
	v_fma_f32 v55, v55, 2.0, -v61
	v_fma_f32 v52, v52, 2.0, -v62
	v_sub_f32_e32 v103, v42, v54
	v_fma_f32 v54, v56, 2.0, -v64
	v_fma_f32 v53, v53, 2.0, -v63
	v_sub_f32_e32 v104, v43, v55
	v_fma_f32 v55, v57, 2.0, -v65
	v_dual_sub_f32 v105, v58, v61 :: v_dual_add_f32 v106, v60, v59
	v_dual_sub_f32 v65, v62, v65 :: v_dual_sub_f32 v60, v52, v54
	v_fma_f32 v56, v42, 2.0, -v103
	v_fma_f32 v57, v43, 2.0, -v104
	s_delay_alu instid0(VALU_DEP_4)
	v_fma_f32 v58, v58, 2.0, -v105
	v_fma_f32 v59, v59, 2.0, -v106
	;; [unrolled: 1-line block ×3, first 2 shown]
	v_sub_f32_e32 v61, v53, v55
	v_fma_f32 v55, v62, 2.0, -v65
	v_dual_add_f32 v60, v104, v60 :: v_dual_sub_f32 v47, v39, v47
	s_delay_alu instid0(VALU_DEP_4) | instskip(NEXT) | instid1(VALU_DEP_4)
	v_sub_f32_e32 v42, v56, v42
	v_fma_f32 v52, v53, 2.0, -v61
	v_add_f32_e32 v107, v64, v63
	v_dual_fmamk_f32 v43, v55, 0xbf3504f3, v58 :: v_dual_sub_f32 v44, v40, v44
	v_fma_f32 v39, v39, 2.0, -v47
	s_delay_alu instid0(VALU_DEP_4) | instskip(NEXT) | instid1(VALU_DEP_4)
	v_sub_f32_e32 v52, v57, v52
	v_fma_f32 v54, v63, 2.0, -v107
	v_fma_f32 v64, v104, 2.0, -v60
	v_sub_f32_e32 v46, v38, v46
	v_sub_f32_e32 v50, v34, v50
	v_fma_f32 v40, v40, 2.0, -v44
	v_fmamk_f32 v53, v54, 0xbf3504f3, v59
	v_fmac_f32_e32 v43, 0xbf3504f3, v54
	v_fma_f32 v54, v56, 2.0, -v42
	v_fma_f32 v56, v57, 2.0, -v52
	s_delay_alu instid0(VALU_DEP_4) | instskip(NEXT) | instid1(VALU_DEP_4)
	v_dual_sub_f32 v48, v36, v48 :: v_dual_fmac_f32 v53, 0x3f3504f3, v55
	v_fma_f32 v55, v58, 2.0, -v43
	v_sub_f32_e32 v58, v103, v61
	v_fmamk_f32 v61, v107, 0x3f3504f3, v106
	s_delay_alu instid0(VALU_DEP_4)
	v_fma_f32 v36, v36, 2.0, -v48
	v_fma_f32 v57, v59, 2.0, -v53
	v_fmamk_f32 v59, v65, 0x3f3504f3, v105
	v_fma_f32 v34, v34, 2.0, -v50
	v_fma_f32 v38, v38, 2.0, -v46
	v_sub_f32_e32 v30, v22, v30
	v_fma_f32 v62, v103, 2.0, -v58
	s_delay_alu instid0(VALU_DEP_4) | instskip(SKIP_1) | instid1(VALU_DEP_4)
	v_dual_fmac_f32 v59, 0xbf3504f3, v107 :: v_dual_sub_f32 v108, v36, v34
	v_sub_f32_e32 v107, v44, v47
	v_fma_f32 v22, v22, 2.0, -v30
	v_sub_f32_e32 v33, v25, v33
	v_sub_f32_e32 v103, v40, v38
	v_fma_f32 v34, v36, 2.0, -v108
	v_sub_f32_e32 v45, v41, v45
	s_wait_loadcnt 0x1
	v_dual_sub_f32 v31, v23, v31 :: v_dual_sub_f32 v12, v6, v12
	s_wait_loadcnt 0x0
	v_sub_f32_e32 v11, v3, v11
	v_fma_f32 v25, v25, 2.0, -v33
	v_fma_f32 v41, v41, 2.0, -v45
	v_fmac_f32_e32 v61, 0x3f3504f3, v65
	v_fma_f32 v23, v23, 2.0, -v31
	v_dual_sub_f32 v27, v19, v27 :: v_dual_sub_f32 v10, v2, v10
	s_delay_alu instid0(VALU_DEP_4)
	v_sub_f32_e32 v104, v41, v39
	v_sub_f32_e32 v51, v35, v51
	v_fma_f32 v65, v106, 2.0, -v61
	v_sub_f32_e32 v26, v18, v26
	v_add_f32_e32 v106, v30, v33
	v_fma_f32 v39, v40, 2.0, -v103
	v_fma_f32 v35, v35, 2.0, -v51
	v_sub_f32_e32 v51, v48, v51
	v_fma_f32 v40, v41, 2.0, -v104
	v_sub_f32_e32 v28, v20, v28
	v_dual_sub_f32 v34, v39, v34 :: v_dual_add_f32 v41, v46, v45
	s_delay_alu instid0(VALU_DEP_4)
	v_fma_f32 v48, v48, 2.0, -v51
	v_sub_f32_e32 v49, v37, v49
	v_fma_f32 v46, v44, 2.0, -v107
	v_fma_f32 v20, v20, 2.0, -v28
	;; [unrolled: 1-line block ×4, first 2 shown]
	v_add_f32_e32 v109, v50, v49
	v_fma_f32 v3, v3, 2.0, -v11
	v_sub_f32_e32 v11, v12, v11
	v_sub_f32_e32 v17, v9, v17
	v_fma_f32 v63, v105, 2.0, -v59
	v_fma_f32 v44, v49, 2.0, -v109
	v_sub_f32_e32 v29, v21, v29
	v_fma_f32 v19, v19, 2.0, -v27
	v_sub_f32_e32 v105, v25, v23
	s_delay_alu instid0(VALU_DEP_4) | instskip(SKIP_1) | instid1(VALU_DEP_3)
	v_dual_sub_f32 v13, v7, v13 :: v_dual_fmamk_f32 v38, v44, 0xbf3504f3, v45
	v_dual_sub_f32 v32, v24, v32 :: v_dual_sub_f32 v15, v5, v15
	v_fma_f32 v25, v25, 2.0, -v105
	v_fma_f32 v9, v9, 2.0, -v17
	s_delay_alu instid0(VALU_DEP_4)
	v_fmac_f32_e32 v38, 0x3f3504f3, v48
	v_fma_f32 v37, v37, 2.0, -v49
	v_sub_f32_e32 v31, v32, v31
	v_fma_f32 v24, v24, 2.0, -v32
	v_fma_f32 v5, v5, 2.0, -v15
	;; [unrolled: 1-line block ×3, first 2 shown]
	v_sub_f32_e32 v47, v37, v35
	v_fma_f32 v23, v32, 2.0, -v31
	v_sub_f32_e32 v32, v28, v27
	v_sub_f32_e32 v27, v20, v18
	v_fma_f32 v21, v21, 2.0, -v29
	v_fma_f32 v36, v37, 2.0, -v47
	v_fmamk_f32 v35, v48, 0xbf3504f3, v46
	v_fma_f32 v2, v2, 2.0, -v10
	v_fma_f32 v18, v20, 2.0, -v27
	;; [unrolled: 1-line block ×3, first 2 shown]
	v_sub_f32_e32 v37, v40, v36
	v_sub_f32_e32 v36, v24, v22
	v_fma_f32 v30, v33, 2.0, -v106
	v_dual_sub_f32 v33, v9, v5 :: v_dual_add_f32 v48, v104, v108
	v_fma_f32 v7, v7, 2.0, -v13
	s_delay_alu instid0(VALU_DEP_4)
	v_fma_f32 v22, v24, 2.0, -v36
	v_dual_sub_f32 v24, v21, v19 :: v_dual_fmac_f32 v35, 0xbf3504f3, v44
	s_clause 0x1
	s_load_b64 s[2:3], s[4:5], 0x8
	s_load_b128 s[4:7], s[4:5], 0x10
	v_sub_f32_e32 v16, v8, v16
	v_sub_f32_e32 v18, v22, v18
	v_fma_f32 v44, v40, 2.0, -v37
	v_fma_f32 v40, v46, 2.0, -v35
	v_sub_f32_e32 v46, v103, v47
	v_fma_f32 v20, v21, 2.0, -v24
	v_fmamk_f32 v47, v51, 0x3f3504f3, v107
	v_dual_fmamk_f32 v49, v109, 0x3f3504f3, v41 :: v_dual_sub_f32 v24, v36, v24
	s_delay_alu instid0(VALU_DEP_3) | instskip(NEXT) | instid1(VALU_DEP_3)
	v_dual_sub_f32 v15, v16, v15 :: v_dual_sub_f32 v20, v25, v20
	v_fmac_f32_e32 v47, 0xbf3504f3, v109
	s_delay_alu instid0(VALU_DEP_3) | instskip(SKIP_1) | instid1(VALU_DEP_4)
	v_dual_fmac_f32 v49, 0x3f3504f3, v51 :: v_dual_sub_f32 v14, v4, v14
	v_fma_f32 v8, v8, 2.0, -v16
	v_fma_f32 v5, v16, 2.0, -v15
	s_delay_alu instid0(VALU_DEP_4)
	v_fma_f32 v51, v107, 2.0, -v47
	v_add_f32_e32 v107, v26, v29
	v_fma_f32 v26, v28, 2.0, -v32
	v_sub_f32_e32 v16, v6, v2
	v_fma_f32 v4, v4, 2.0, -v14
	v_fma_f32 v50, v103, 2.0, -v46
	;; [unrolled: 1-line block ×5, first 2 shown]
	v_dual_fmamk_f32 v19, v26, 0xbf3504f3, v23 :: v_dual_lshlrev_b32 v102, 14, v102
	s_delay_alu instid0(VALU_DEP_4) | instskip(SKIP_2) | instid1(VALU_DEP_4)
	v_fmamk_f32 v21, v28, 0xbf3504f3, v30
	v_fmamk_f32 v29, v107, 0x3f3504f3, v106
	v_fma_f32 v104, v41, 2.0, -v49
	v_dual_fmac_f32 v19, 0xbf3504f3, v28 :: v_dual_add_f32 v28, v105, v27
	s_delay_alu instid0(VALU_DEP_4)
	v_fmac_f32_e32 v21, 0x3f3504f3, v26
	v_fma_f32 v26, v25, 2.0, -v20
	v_fmac_f32_e32 v29, 0x3f3504f3, v32
	v_sub_f32_e32 v41, v7, v3
	v_fmamk_f32 v3, v12, 0xbf3504f3, v5
	v_fma_f32 v27, v30, 2.0, -v21
	v_fma_f32 v30, v36, 2.0, -v24
	v_dual_add_f32 v36, v14, v17 :: v_dual_fmamk_f32 v25, v32, 0x3f3504f3, v31
	v_add_f32_e32 v16, v33, v16
	v_sub_f32_e32 v32, v8, v4
	v_add_f32_e32 v14, v10, v13
	v_fma_f32 v6, v7, 2.0, -v41
	v_fma_f32 v39, v39, 2.0, -v34
	;; [unrolled: 1-line block ×7, first 2 shown]
	v_sub_f32_e32 v7, v32, v41
	v_sub_f32_e32 v2, v4, v2
	v_fma_f32 v23, v23, 2.0, -v19
	v_fmamk_f32 v10, v13, 0xbf3504f3, v8
	v_sub_f32_e32 v9, v17, v6
	v_dual_fmac_f32 v3, 0xbf3504f3, v13 :: v_dual_add_nc_u32 v6, 0, v102
	v_fma_f32 v4, v4, 2.0, -v2
	s_delay_alu instid0(VALU_DEP_4) | instskip(NEXT) | instid1(VALU_DEP_4)
	v_fmac_f32_e32 v10, 0x3f3504f3, v12
	v_fma_f32 v12, v17, 2.0, -v9
	v_fmamk_f32 v17, v14, 0x3f3504f3, v36
	v_lshl_add_u32 v41, v66, 5, v6
	v_fma_f32 v5, v5, 2.0, -v3
	v_fma_f32 v13, v8, 2.0, -v10
	v_fmamk_f32 v8, v11, 0x3f3504f3, v15
	v_fmac_f32_e32 v25, 0xbf3504f3, v107
	v_fmac_f32_e32 v17, 0x3f3504f3, v11
	v_lshlrev_b32_e32 v11, 2, v66
	v_fma_f32 v107, v33, 2.0, -v16
	v_fmac_f32_e32 v8, 0xbf3504f3, v14
	v_fma_f32 v14, v32, 2.0, -v7
	v_lshl_add_u32 v125, v71, 5, v6
	ds_store_2addr_b64 v41, v[54:55], v[62:63] offset1:1
	ds_store_2addr_b64 v41, v[42:43], v[58:59] offset0:2 offset1:3
	v_lshl_add_u32 v42, v73, 5, v6
	v_fma_f32 v15, v15, 2.0, -v8
	v_add3_u32 v33, 0, v11, v102
	v_fma_f32 v31, v31, 2.0, -v25
	v_lshl_add_u32 v126, v72, 5, v6
	ds_store_2addr_b64 v125, v[39:40], v[50:51] offset1:1
	ds_store_2addr_b64 v125, v[34:35], v[46:47] offset0:2 offset1:3
	ds_store_2addr_b64 v126, v[22:23], v[30:31] offset1:1
	ds_store_2addr_b64 v126, v[18:19], v[24:25] offset0:2 offset1:3
	;; [unrolled: 2-line block ×3, first 2 shown]
	global_wb scope:SCOPE_SE
	s_wait_dscnt 0x0
	s_wait_kmcnt 0x0
	s_barrier_signal -1
	s_barrier_wait -1
	global_inv scope:SCOPE_SE
	ds_load_2addr_stride64_b32 v[4:5], v33 offset0:8 offset1:10
	ds_load_2addr_stride64_b32 v[50:51], v33 offset0:12 offset1:14
	;; [unrolled: 1-line block ×13, first 2 shown]
	v_and_b32_e32 v7, 7, v0
	v_fma_f32 v105, v105, 2.0, -v28
	v_add_nc_u32_e32 v34, v6, v11
	v_fma_f32 v106, v106, 2.0, -v29
	v_fma_f32 v45, v45, 2.0, -v38
	v_mul_u32_u24_e32 v18, 15, v7
	v_fma_f32 v108, v36, 2.0, -v17
	v_mad_i32_i24 v32, 0xffffffe4, v72, v126
	v_lshl_add_u32 v35, v71, 2, v6
	v_mad_i32_i24 v36, 0xffffffe4, v73, v42
	ds_load_2addr_stride64_b32 v[2:3], v33 offset0:60 offset1:62
	ds_load_b32 v11, v34
	ds_load_b32 v15, v32
	;; [unrolled: 1-line block ×4, first 2 shown]
	global_wb scope:SCOPE_SE
	s_wait_dscnt 0x0
	s_barrier_signal -1
	s_barrier_wait -1
	global_inv scope:SCOPE_SE
	ds_store_2addr_b64 v41, v[56:57], v[64:65] offset1:1
	ds_store_2addr_b64 v41, v[52:53], v[60:61] offset0:2 offset1:3
	ds_store_2addr_b64 v125, v[44:45], v[103:104] offset1:1
	ds_store_2addr_b64 v125, v[37:38], v[48:49] offset0:2 offset1:3
	;; [unrolled: 2-line block ×4, first 2 shown]
	v_lshlrev_b32_e32 v9, 3, v18
	global_wb scope:SCOPE_SE
	s_wait_dscnt 0x0
	s_barrier_signal -1
	s_barrier_wait -1
	global_inv scope:SCOPE_SE
	s_clause 0x7
	global_load_b128 v[16:19], v9, s[8:9] offset:16
	global_load_b128 v[20:23], v9, s[8:9] offset:32
	global_load_b128 v[24:27], v9, s[8:9] offset:48
	global_load_b128 v[28:31], v9, s[8:9] offset:64
	global_load_b128 v[37:40], v9, s[8:9] offset:80
	global_load_b128 v[41:44], v9, s[8:9] offset:96
	global_load_b128 v[45:48], v9, s[8:9]
	global_load_b64 v[52:53], v9, s[8:9] offset:112
	ds_load_2addr_stride64_b32 v[12:13], v33 offset0:12 offset1:14
	ds_load_2addr_stride64_b32 v[56:57], v33 offset0:16 offset1:18
	;; [unrolled: 1-line block ×5, first 2 shown]
	v_lshl_add_u32 v76, v76, 2, v6
	v_lshl_add_u32 v83, v83, 2, v6
	;; [unrolled: 1-line block ×14, first 2 shown]
	v_lshlrev_b32_e32 v0, 4, v0
	s_wait_loadcnt_dscnt 0x704
	v_mul_f32_e32 v10, v12, v17
	v_mul_f32_e32 v49, v13, v17
	v_mul_f32_e32 v104, v50, v17
	v_mul_f32_e32 v9, v51, v17
	s_wait_dscnt 0x3
	v_mul_f32_e32 v17, v56, v19
	v_fma_f32 v105, v50, v16, -v10
	v_fma_f32 v10, v51, v16, -v49
	v_dual_mul_f32 v49, v57, v19 :: v_dual_fmac_f32 v104, v12, v16
	v_fmac_f32_e32 v9, v13, v16
	v_mul_f32_e32 v51, v54, v19
	v_mul_f32_e32 v12, v55, v19
	s_delay_alu instid0(VALU_DEP_4)
	v_fma_f32 v13, v55, v18, -v49
	ds_load_2addr_stride64_b32 v[49:50], v33 offset0:32 offset1:34
	v_fma_f32 v54, v54, v18, -v17
	v_fmac_f32_e32 v51, v56, v18
	s_wait_loadcnt_dscnt 0x603
	v_dual_fmac_f32 v12, v57, v18 :: v_dual_mul_f32 v17, v60, v21
	v_mul_f32_e32 v55, v61, v21
	ds_load_2addr_stride64_b32 v[18:19], v33 offset0:36 offset1:38
	v_mul_f32_e32 v56, v58, v21
	s_wait_dscnt 0x3
	v_dual_mul_f32 v16, v59, v21 :: v_dual_mul_f32 v21, v64, v23
	v_fma_f32 v57, v58, v20, -v17
	v_fma_f32 v17, v59, v20, -v55
	v_dual_mul_f32 v55, v65, v23 :: v_dual_fmac_f32 v56, v60, v20
	s_delay_alu instid0(VALU_DEP_4)
	v_fmac_f32_e32 v16, v61, v20
	v_mul_f32_e32 v58, v62, v23
	v_mul_f32_e32 v59, v63, v23
	v_fma_f32 v60, v62, v22, -v21
	ds_load_2addr_stride64_b32 v[20:21], v33 offset0:40 offset1:42
	v_fma_f32 v55, v63, v22, -v55
	v_fmac_f32_e32 v58, v64, v22
	v_fmac_f32_e32 v59, v65, v22
	ds_load_2addr_stride64_b32 v[22:23], v33 offset0:44 offset1:46
	s_wait_loadcnt 0x5
	v_mul_f32_e32 v63, v109, v25
	v_mul_f32_e32 v64, v110, v25
	s_wait_dscnt 0x4
	v_mul_f32_e32 v61, v102, v25
	s_wait_dscnt 0x3
	v_dual_mul_f32 v62, v103, v25 :: v_dual_mul_f32 v25, v49, v27
	v_fmac_f32_e32 v63, v102, v24
	v_fmac_f32_e32 v64, v103, v24
	v_mul_f32_e32 v102, v111, v27
	v_mul_f32_e32 v103, v112, v27
	v_fma_f32 v61, v109, v24, -v61
	v_fma_f32 v62, v110, v24, -v62
	v_mul_f32_e32 v65, v50, v27
	v_fma_f32 v106, v111, v26, -v25
	ds_load_2addr_stride64_b32 v[24:25], v33 offset0:48 offset1:50
	v_fmac_f32_e32 v102, v49, v26
	v_fmac_f32_e32 v103, v50, v26
	s_wait_loadcnt_dscnt 0x403
	v_mul_f32_e32 v49, v18, v29
	v_mul_f32_e32 v50, v19, v29
	;; [unrolled: 1-line block ×3, first 2 shown]
	s_wait_dscnt 0x2
	v_dual_mul_f32 v29, v114, v29 :: v_dual_mul_f32 v108, v20, v31
	v_fma_f32 v49, v113, v28, -v49
	v_fma_f32 v50, v114, v28, -v50
	v_mul_f32_e32 v109, v21, v31
	v_fmac_f32_e32 v107, v18, v28
	v_fmac_f32_e32 v29, v19, v28
	v_mul_f32_e32 v28, v115, v31
	v_mul_f32_e32 v31, v116, v31
	v_fma_f32 v108, v115, v30, -v108
	v_fma_f32 v109, v116, v30, -v109
	s_wait_loadcnt_dscnt 0x301
	v_mul_f32_e32 v18, v22, v38
	v_mul_f32_e32 v19, v23, v38
	v_fmac_f32_e32 v28, v20, v30
	v_fmac_f32_e32 v31, v21, v30
	v_mul_f32_e32 v30, v117, v38
	v_mul_f32_e32 v38, v118, v38
	v_fma_f32 v110, v117, v37, -v18
	v_fma_f32 v111, v118, v37, -v19
	s_wait_dscnt 0x0
	v_mul_f32_e32 v20, v24, v40
	v_fmac_f32_e32 v30, v22, v37
	v_fmac_f32_e32 v38, v23, v37
	v_mul_f32_e32 v37, v119, v40
	ds_load_2addr_stride64_b32 v[18:19], v33 offset0:56 offset1:58
	v_mul_f32_e32 v21, v25, v40
	v_mul_f32_e32 v40, v120, v40
	v_sub_f32_e32 v30, v104, v30
	s_wait_loadcnt 0x2
	v_dual_fmac_f32 v37, v24, v39 :: v_dual_mul_f32 v24, v121, v42
	v_fma_f32 v65, v112, v26, -v65
	ds_load_2addr_stride64_b32 v[26:27], v33 offset0:52 offset1:54
	v_fma_f32 v112, v119, v39, -v20
	v_fma_f32 v113, v120, v39, -v21
	ds_load_2addr_stride64_b32 v[20:21], v33 offset0:8 offset1:10
	v_fmac_f32_e32 v40, v25, v39
	v_fma_f32 v104, v104, 2.0, -v30
	v_sub_f32_e32 v38, v9, v38
	v_and_or_b32 v0, 0x780, v0, v7
	s_delay_alu instid0(VALU_DEP_4) | instskip(NEXT) | instid1(VALU_DEP_3)
	v_sub_f32_e32 v40, v12, v40
	v_fma_f32 v9, v9, 2.0, -v38
	s_delay_alu instid0(VALU_DEP_3) | instskip(NEXT) | instid1(VALU_DEP_3)
	v_lshl_add_u32 v0, v0, 2, v6
	v_fma_f32 v12, v12, 2.0, -v40
	s_wait_dscnt 0x1
	v_mul_f32_e32 v22, v26, v42
	v_mul_f32_e32 v23, v27, v42
	;; [unrolled: 1-line block ×3, first 2 shown]
	v_fmac_f32_e32 v24, v26, v41
	ds_load_b32 v26, v32
	v_fma_f32 v25, v121, v41, -v22
	v_mul_f32_e32 v22, v18, v44
	v_fma_f32 v39, v122, v41, -v23
	v_fmac_f32_e32 v42, v27, v41
	ds_load_b32 v27, v36
	v_mul_f32_e32 v41, v123, v44
	v_fma_f32 v114, v123, v43, -v22
	v_mul_f32_e32 v23, v19, v44
	s_wait_loadcnt_dscnt 0x102
	v_mul_f32_e32 v116, v20, v48
	v_dual_mul_f32 v44, v124, v44 :: v_dual_fmac_f32 v41, v18, v43
	v_sub_f32_e32 v24, v56, v24
	v_fma_f32 v115, v124, v43, -v23
	ds_load_2addr_stride64_b32 v[22:23], v33 offset0:60 offset1:62
	v_fma_f32 v18, v4, v47, -v116
	v_mul_f32_e32 v4, v4, v48
	v_mul_f32_e32 v117, v21, v48
	v_dual_sub_f32 v41, v58, v41 :: v_dual_fmac_f32 v44, v19, v43
	s_wait_dscnt 0x2
	v_mul_f32_e32 v116, v26, v46
	v_fmac_f32_e32 v4, v20, v47
	v_fma_f32 v19, v5, v47, -v117
	v_mul_f32_e32 v20, v15, v46
	v_fma_f32 v58, v58, 2.0, -v41
	v_fma_f32 v15, v15, v45, -v116
	v_sub_f32_e32 v28, v4, v28
	v_fma_f32 v56, v56, 2.0, -v24
	s_wait_dscnt 0x1
	v_dual_fmac_f32 v20, v26, v45 :: v_dual_mul_f32 v117, v27, v46
	v_sub_f32_e32 v49, v15, v49
	v_fma_f32 v4, v4, 2.0, -v28
	v_mul_f32_e32 v5, v5, v48
	ds_load_b32 v43, v35
	ds_load_b32 v48, v34
	s_wait_loadcnt_dscnt 0x2
	v_mul_f32_e32 v26, v22, v53
	v_sub_f32_e32 v24, v49, v24
	v_dual_sub_f32 v58, v4, v58 :: v_dual_fmac_f32 v5, v21, v47
	v_dual_mul_f32 v21, v14, v46 :: v_dual_mul_f32 v46, v23, v53
	v_fma_f32 v14, v14, v45, -v117
	s_delay_alu instid0(VALU_DEP_3) | instskip(SKIP_1) | instid1(VALU_DEP_4)
	v_fma_f32 v4, v4, 2.0, -v58
	v_sub_f32_e32 v44, v59, v44
	v_fmac_f32_e32 v21, v27, v45
	v_mul_f32_e32 v27, v2, v53
	v_fma_f32 v2, v2, v52, -v26
	v_sub_f32_e32 v26, v11, v106
	v_sub_f32_e32 v50, v14, v50
	s_delay_alu instid0(VALU_DEP_4) | instskip(NEXT) | instid1(VALU_DEP_4)
	v_dual_sub_f32 v42, v16, v42 :: v_dual_fmac_f32 v27, v22, v52
	v_dual_sub_f32 v2, v61, v2 :: v_dual_mul_f32 v45, v3, v53
	v_fma_f32 v3, v3, v52, -v46
	v_sub_f32_e32 v46, v18, v108
	s_wait_dscnt 0x0
	v_sub_f32_e32 v22, v48, v102
	v_fma_f32 v61, v61, 2.0, -v2
	v_dual_add_f32 v2, v30, v2 :: v_dual_fmac_f32 v45, v23, v52
	v_sub_f32_e32 v41, v46, v41
	v_fma_f32 v18, v18, 2.0, -v46
	v_sub_f32_e32 v52, v60, v114
	v_fma_f32 v47, v48, 2.0, -v22
	v_fma_f32 v11, v11, 2.0, -v26
	;; [unrolled: 1-line block ×3, first 2 shown]
	v_sub_f32_e32 v23, v54, v112
	v_sub_f32_e32 v29, v21, v29
	;; [unrolled: 1-line block ×4, first 2 shown]
	v_fma_f32 v16, v16, 2.0, -v42
	v_fma_f32 v48, v54, 2.0, -v23
	;; [unrolled: 1-line block ×3, first 2 shown]
	v_dual_sub_f32 v60, v105, v110 :: v_dual_add_f32 v23, v22, v23
	v_dual_add_f32 v52, v28, v52 :: v_dual_sub_f32 v37, v51, v37
	s_delay_alu instid0(VALU_DEP_4) | instskip(NEXT) | instid1(VALU_DEP_3)
	v_sub_f32_e32 v48, v11, v48
	v_fma_f32 v102, v105, 2.0, -v60
	s_delay_alu instid0(VALU_DEP_4) | instskip(NEXT) | instid1(VALU_DEP_4)
	v_fma_f32 v22, v22, 2.0, -v23
	v_fma_f32 v28, v28, 2.0, -v52
	;; [unrolled: 1-line block ×3, first 2 shown]
	v_sub_f32_e32 v54, v18, v54
	v_sub_f32_e32 v61, v102, v61
	v_fma_f32 v11, v11, 2.0, -v48
	s_delay_alu instid0(VALU_DEP_4) | instskip(NEXT) | instid1(VALU_DEP_4)
	v_dual_fmamk_f32 v106, v28, 0xbf3504f3, v22 :: v_dual_sub_f32 v51, v47, v51
	v_fma_f32 v18, v18, 2.0, -v54
	s_delay_alu instid0(VALU_DEP_4) | instskip(NEXT) | instid1(VALU_DEP_3)
	v_fma_f32 v102, v102, 2.0, -v61
	v_dual_sub_f32 v37, v26, v37 :: v_dual_fmac_f32 v106, 0x3f3504f3, v46
	s_delay_alu instid0(VALU_DEP_4) | instskip(SKIP_1) | instid1(VALU_DEP_3)
	v_fma_f32 v47, v47, 2.0, -v51
	v_dual_sub_f32 v53, v20, v107 :: v_dual_add_f32 v54, v51, v54
	v_fma_f32 v26, v26, 2.0, -v37
	v_sub_f32_e32 v18, v11, v18
	s_delay_alu instid0(VALU_DEP_4) | instskip(NEXT) | instid1(VALU_DEP_4)
	v_sub_f32_e32 v4, v47, v4
	v_fma_f32 v20, v20, 2.0, -v53
	v_fma_f32 v22, v22, 2.0, -v106
	v_fmamk_f32 v105, v46, 0xbf3504f3, v26
	v_fmamk_f32 v46, v41, 0x3f3504f3, v37
	v_sub_f32_e32 v25, v57, v25
	v_fma_f32 v15, v15, 2.0, -v49
	v_sub_f32_e32 v56, v20, v56
	v_fmac_f32_e32 v105, 0xbf3504f3, v28
	v_fmac_f32_e32 v46, 0xbf3504f3, v52
	v_fma_f32 v57, v57, 2.0, -v25
	v_fma_f32 v28, v30, 2.0, -v2
	;; [unrolled: 1-line block ×4, first 2 shown]
	v_sub_f32_e32 v47, v48, v58
	v_dual_sub_f32 v57, v15, v57 :: v_dual_fmamk_f32 v58, v52, 0x3f3504f3, v23
	v_sub_f32_e32 v27, v63, v27
	v_fma_f32 v20, v20, 2.0, -v56
	v_fma_f32 v49, v49, 2.0, -v24
	s_delay_alu instid0(VALU_DEP_4) | instskip(SKIP_3) | instid1(VALU_DEP_4)
	v_fma_f32 v15, v15, 2.0, -v57
	v_fmac_f32_e32 v58, 0x3f3504f3, v41
	v_fma_f32 v63, v63, 2.0, -v27
	v_fma_f32 v21, v21, 2.0, -v29
	v_dual_sub_f32 v45, v64, v45 :: v_dual_sub_f32 v52, v15, v102
	v_fma_f32 v37, v37, 2.0, -v46
	v_add_f32_e32 v25, v53, v25
	v_sub_f32_e32 v63, v104, v63
	v_fma_f32 v14, v14, 2.0, -v50
	v_fma_f32 v17, v17, 2.0, -v39
	;; [unrolled: 1-line block ×6, first 2 shown]
	v_sub_f32_e32 v16, v21, v16
	v_fma_f32 v11, v11, 2.0, -v18
	v_fma_f32 v15, v15, 2.0, -v52
	v_sub_f32_e32 v102, v20, v104
	v_fmamk_f32 v104, v28, 0xbf3504f3, v53
	v_fma_f32 v23, v23, 2.0, -v58
	v_sub_f32_e32 v27, v60, v27
	v_fma_f32 v51, v51, 2.0, -v54
	v_fma_f32 v20, v20, 2.0, -v102
	v_sub_f32_e32 v17, v14, v17
	v_sub_f32_e32 v42, v50, v42
	v_fma_f32 v60, v60, 2.0, -v27
	v_sub_f32_e32 v64, v9, v64
	v_fma_f32 v59, v59, 2.0, -v44
	v_fma_f32 v14, v14, 2.0, -v17
	;; [unrolled: 1-line block ×3, first 2 shown]
	v_fmamk_f32 v41, v60, 0xbf3504f3, v49
	v_fmac_f32_e32 v104, 0x3f3504f3, v60
	v_dual_sub_f32 v60, v57, v63 :: v_dual_fmamk_f32 v63, v2, 0x3f3504f3, v25
	v_fma_f32 v9, v9, 2.0, -v64
	s_delay_alu instid0(VALU_DEP_4) | instskip(NEXT) | instid1(VALU_DEP_4)
	v_fmac_f32_e32 v41, 0xbf3504f3, v28
	v_fma_f32 v53, v53, 2.0, -v104
	v_sub_f32_e32 v15, v11, v15
	v_dual_fmac_f32 v63, 0x3f3504f3, v27 :: v_dual_sub_f32 v64, v17, v64
	s_delay_alu instid0(VALU_DEP_4)
	v_fma_f32 v28, v49, 2.0, -v41
	v_fmamk_f32 v49, v27, 0x3f3504f3, v24
	v_fmamk_f32 v107, v53, 0xbf6c835e, v22
	v_add_f32_e32 v3, v38, v3
	v_fma_f32 v21, v21, 2.0, -v16
	global_wb scope:SCOPE_SE
	v_fmac_f32_e32 v49, 0xbf3504f3, v2
	v_fma_f32 v2, v57, 2.0, -v60
	v_dual_sub_f32 v57, v30, v20 :: v_dual_fmamk_f32 v20, v28, 0xbf6c835e, v26
	v_fmac_f32_e32 v107, 0x3ec3ef15, v28
	s_delay_alu instid0(VALU_DEP_4)
	v_fma_f32 v24, v24, 2.0, -v49
	v_add_f32_e32 v61, v56, v61
	v_sub_f32_e32 v9, v21, v9
	v_fmac_f32_e32 v20, 0xbec3ef15, v53
	s_barrier_signal -1
	v_fmamk_f32 v28, v24, 0xbec3ef15, v37
	v_fma_f32 v25, v25, 2.0, -v63
	v_fma_f32 v56, v56, 2.0, -v61
	;; [unrolled: 1-line block ×4, first 2 shown]
	s_barrier_wait -1
	v_fmac_f32_e32 v28, 0xbf6c835e, v25
	v_fma_f32 v48, v48, 2.0, -v47
	v_fmamk_f32 v53, v56, 0xbf3504f3, v51
	global_inv scope:SCOPE_SE
	v_fmamk_f32 v27, v2, 0xbf3504f3, v48
	v_fmac_f32_e32 v53, 0x3f3504f3, v2
	v_fmamk_f32 v2, v25, 0xbec3ef15, v23
	s_delay_alu instid0(VALU_DEP_3) | instskip(SKIP_1) | instid1(VALU_DEP_3)
	v_fmac_f32_e32 v27, 0xbf3504f3, v56
	v_fma_f32 v56, v22, 2.0, -v107
	v_fmac_f32_e32 v2, 0x3f6c835e, v24
	v_fma_f32 v24, v37, 2.0, -v28
	s_delay_alu instid0(VALU_DEP_4)
	v_fma_f32 v22, v48, 2.0, -v27
	v_fma_f32 v48, v51, 2.0, -v53
	v_add_f32_e32 v51, v4, v52
	v_fmamk_f32 v52, v104, 0x3ec3ef15, v106
	v_fma_f32 v108, v30, 2.0, -v57
	v_dual_fmamk_f32 v30, v41, 0x3ec3ef15, v105 :: v_dual_sub_f32 v25, v18, v102
	v_fma_f32 v102, v23, 2.0, -v2
	s_delay_alu instid0(VALU_DEP_4)
	v_fmac_f32_e32 v52, 0x3f6c835e, v41
	v_fmamk_f32 v23, v60, 0x3f3504f3, v47
	v_fmamk_f32 v41, v61, 0x3f3504f3, v54
	v_fmac_f32_e32 v30, 0xbf6c835e, v104
	v_fma_f32 v11, v11, 2.0, -v15
	v_fma_f32 v18, v18, 2.0, -v25
	v_fmac_f32_e32 v23, 0xbf3504f3, v61
	v_fmac_f32_e32 v41, 0x3f3504f3, v60
	v_fma_f32 v60, v106, 2.0, -v52
	v_sub_f32_e32 v61, v43, v103
	v_sub_f32_e32 v106, v10, v111
	v_fmamk_f32 v104, v49, 0x3f6c835e, v46
	v_fma_f32 v37, v105, 2.0, -v30
	v_fma_f32 v4, v4, 2.0, -v51
	;; [unrolled: 1-line block ×4, first 2 shown]
	v_sub_f32_e32 v45, v106, v45
	v_sub_f32_e32 v103, v55, v115
	s_delay_alu instid0(VALU_DEP_4) | instskip(SKIP_4) | instid1(VALU_DEP_4)
	v_sub_f32_e32 v12, v43, v12
	v_fmamk_f32 v105, v63, 0x3f6c835e, v58
	v_dual_fmac_f32 v104, 0xbec3ef15, v63 :: v_dual_sub_f32 v63, v13, v113
	v_sub_f32_e32 v62, v10, v62
	v_fma_f32 v106, v106, 2.0, -v45
	v_fmac_f32_e32 v105, 0x3ec3ef15, v49
	v_fma_f32 v49, v54, 2.0, -v41
	v_sub_f32_e32 v54, v8, v65
	v_sub_f32_e32 v65, v19, v109
	v_fma_f32 v13, v13, 2.0, -v63
	v_fma_f32 v55, v55, 2.0, -v103
	;; [unrolled: 1-line block ×5, first 2 shown]
	v_sub_f32_e32 v40, v54, v40
	v_sub_f32_e32 v44, v65, v44
	s_delay_alu instid0(VALU_DEP_4) | instskip(NEXT) | instid1(VALU_DEP_4)
	v_dual_sub_f32 v10, v14, v10 :: v_dual_sub_f32 v13, v8, v13
	v_sub_f32_e32 v55, v19, v55
	s_delay_alu instid0(VALU_DEP_4) | instskip(NEXT) | instid1(VALU_DEP_4)
	v_fma_f32 v54, v54, 2.0, -v40
	v_fma_f32 v65, v65, 2.0, -v44
	s_delay_alu instid0(VALU_DEP_4) | instskip(SKIP_2) | instid1(VALU_DEP_4)
	v_fma_f32 v14, v14, 2.0, -v10
	v_fma_f32 v8, v8, 2.0, -v13
	;; [unrolled: 1-line block ×3, first 2 shown]
	v_dual_add_f32 v62, v16, v62 :: v_dual_fmamk_f32 v109, v65, 0xbf3504f3, v54
	v_fma_f32 v43, v43, 2.0, -v12
	v_fma_f32 v46, v46, 2.0, -v104
	s_delay_alu instid0(VALU_DEP_4) | instskip(NEXT) | instid1(VALU_DEP_4)
	v_sub_f32_e32 v19, v8, v19
	v_fma_f32 v16, v16, 2.0, -v62
	v_fma_f32 v58, v58, 2.0, -v105
	s_delay_alu instid0(VALU_DEP_3) | instskip(NEXT) | instid1(VALU_DEP_1)
	v_fma_f32 v8, v8, 2.0, -v19
	v_dual_sub_f32 v9, v19, v9 :: v_dual_sub_f32 v14, v8, v14
	v_add_f32_e32 v39, v29, v39
	v_sub_f32_e32 v31, v5, v31
	s_delay_alu instid0(VALU_DEP_3) | instskip(NEXT) | instid1(VALU_DEP_2)
	v_fma_f32 v8, v8, 2.0, -v14
	v_add_f32_e32 v103, v31, v103
	v_fma_f32 v5, v5, 2.0, -v31
	s_delay_alu instid0(VALU_DEP_2) | instskip(NEXT) | instid1(VALU_DEP_2)
	v_fma_f32 v31, v31, 2.0, -v103
	v_sub_f32_e32 v59, v5, v59
	s_delay_alu instid0(VALU_DEP_2) | instskip(SKIP_1) | instid1(VALU_DEP_3)
	v_fmac_f32_e32 v109, 0xbf3504f3, v31
	v_add_f32_e32 v63, v61, v63
	v_fma_f32 v5, v5, 2.0, -v59
	s_delay_alu instid0(VALU_DEP_2) | instskip(NEXT) | instid1(VALU_DEP_2)
	v_fma_f32 v61, v61, 2.0, -v63
	v_sub_f32_e32 v5, v43, v5
	s_delay_alu instid0(VALU_DEP_2) | instskip(SKIP_2) | instid1(VALU_DEP_4)
	v_fmamk_f32 v110, v31, 0xbf3504f3, v61
	v_fma_f32 v29, v29, 2.0, -v39
	v_fma_f32 v31, v38, 2.0, -v3
	;; [unrolled: 1-line block ×4, first 2 shown]
	v_fmac_f32_e32 v110, 0x3f3504f3, v65
	v_dual_fmamk_f32 v54, v44, 0x3f3504f3, v40 :: v_dual_fmamk_f32 v65, v103, 0x3f3504f3, v63
	v_dual_add_f32 v114, v5, v10 :: v_dual_add_f32 v55, v12, v55
	s_delay_alu instid0(VALU_DEP_3) | instskip(NEXT) | instid1(VALU_DEP_3)
	v_fma_f32 v61, v61, 2.0, -v110
	v_fmac_f32_e32 v54, 0xbf3504f3, v103
	s_delay_alu instid0(VALU_DEP_4) | instskip(SKIP_2) | instid1(VALU_DEP_4)
	v_fmac_f32_e32 v65, 0x3f3504f3, v44
	v_dual_fmamk_f32 v44, v106, 0xbf3504f3, v50 :: v_dual_fmamk_f32 v103, v31, 0xbf3504f3, v29
	v_fma_f32 v12, v12, 2.0, -v55
	v_fma_f32 v40, v40, 2.0, -v54
	;; [unrolled: 1-line block ×3, first 2 shown]
	s_delay_alu instid0(VALU_DEP_4) | instskip(SKIP_3) | instid1(VALU_DEP_4)
	v_fmac_f32_e32 v44, 0xbf3504f3, v31
	v_fma_f32 v31, v63, 2.0, -v65
	v_fmac_f32_e32 v103, 0x3f3504f3, v106
	v_dual_fmamk_f32 v63, v45, 0x3f3504f3, v42 :: v_dual_fmamk_f32 v106, v3, 0x3f3504f3, v39
	v_fma_f32 v50, v50, 2.0, -v44
	v_fmamk_f32 v113, v16, 0xbf3504f3, v12
	s_delay_alu instid0(VALU_DEP_4) | instskip(NEXT) | instid1(VALU_DEP_4)
	v_fma_f32 v29, v29, 2.0, -v103
	v_fmac_f32_e32 v63, 0xbf3504f3, v3
	v_fma_f32 v3, v17, 2.0, -v64
	v_fmac_f32_e32 v106, 0x3f3504f3, v45
	v_sub_f32_e32 v45, v38, v21
	v_fmamk_f32 v111, v29, 0xbf6c835e, v61
	v_fma_f32 v17, v42, 2.0, -v63
	v_fmamk_f32 v42, v50, 0xbf6c835e, v43
	v_fmac_f32_e32 v113, 0x3f3504f3, v3
	v_fma_f32 v112, v38, 2.0, -v45
	v_fmac_f32_e32 v111, 0x3ec3ef15, v50
	v_fma_f32 v21, v39, 2.0, -v106
	v_fmac_f32_e32 v42, 0xbec3ef15, v29
	v_fma_f32 v50, v12, 2.0, -v113
	v_fmamk_f32 v12, v44, 0x3ec3ef15, v109
	v_fmamk_f32 v39, v17, 0xbec3ef15, v40
	v_fma_f32 v47, v47, 2.0, -v23
	v_fma_f32 v38, v43, 2.0, -v42
	;; [unrolled: 1-line block ×3, first 2 shown]
	v_fmamk_f32 v61, v103, 0x3ec3ef15, v110
	v_dual_fmac_f32 v12, 0xbf6c835e, v103 :: v_dual_fmac_f32 v39, 0xbf6c835e, v21
	ds_store_2addr_b32 v0, v11, v26 offset1:8
	ds_store_2addr_b32 v0, v22, v24 offset0:16 offset1:24
	ds_store_2addr_b32 v0, v18, v37 offset0:32 offset1:40
	;; [unrolled: 1-line block ×3, first 2 shown]
	v_fma_f32 v5, v5, 2.0, -v114
	v_fmac_f32_e32 v61, 0x3f6c835e, v44
	v_dual_fmamk_f32 v44, v62, 0x3f3504f3, v55 :: v_dual_sub_f32 v59, v13, v59
	s_delay_alu instid0(VALU_DEP_2) | instskip(NEXT) | instid1(VALU_DEP_2)
	v_fma_f32 v103, v110, 2.0, -v61
	v_fmac_f32_e32 v44, 0x3f3504f3, v64
	s_delay_alu instid0(VALU_DEP_3) | instskip(SKIP_1) | instid1(VALU_DEP_3)
	v_fma_f32 v13, v13, 2.0, -v59
	v_fmamk_f32 v19, v64, 0x3f3504f3, v59
	v_fma_f32 v55, v55, 2.0, -v44
	s_delay_alu instid0(VALU_DEP_3) | instskip(SKIP_1) | instid1(VALU_DEP_4)
	v_fmamk_f32 v29, v3, 0xbf3504f3, v13
	v_fmamk_f32 v3, v21, 0xbec3ef15, v31
	v_dual_fmac_f32 v19, 0xbf3504f3, v62 :: v_dual_lshlrev_b32 v62, 4, v71
	v_fmamk_f32 v21, v63, 0x3f6c835e, v54
	s_delay_alu instid0(VALU_DEP_4) | instskip(NEXT) | instid1(VALU_DEP_4)
	v_fmac_f32_e32 v29, 0xbf3504f3, v16
	v_fmac_f32_e32 v3, 0x3f6c835e, v17
	v_fma_f32 v17, v109, 2.0, -v12
	v_fmamk_f32 v109, v106, 0x3f6c835e, v65
	v_and_or_b32 v7, 0xf80, v62, v7
	v_fmac_f32_e32 v21, 0xbec3ef15, v106
	v_fma_f32 v13, v13, 2.0, -v29
	v_fma_f32 v16, v40, 2.0, -v39
	v_fmac_f32_e32 v109, 0x3ec3ef15, v63
	v_fma_f32 v40, v59, 2.0, -v19
	v_lshl_add_u32 v46, v7, 2, v6
	v_fma_f32 v31, v31, 2.0, -v3
	v_fma_f32 v54, v54, 2.0, -v21
	;; [unrolled: 1-line block ×3, first 2 shown]
	ds_store_2addr_b32 v0, v15, v20 offset0:64 offset1:72
	ds_store_2addr_b32 v0, v27, v28 offset0:80 offset1:88
	;; [unrolled: 1-line block ×4, first 2 shown]
	ds_store_2addr_b32 v46, v8, v38 offset1:8
	ds_store_2addr_b32 v46, v13, v16 offset0:16 offset1:24
	ds_store_2addr_b32 v46, v10, v17 offset0:32 offset1:40
	;; [unrolled: 1-line block ×7, first 2 shown]
	global_wb scope:SCOPE_SE
	s_wait_dscnt 0x0
	s_barrier_signal -1
	s_barrier_wait -1
	global_inv scope:SCOPE_SE
	ds_load_b32 v65, v34
	ds_load_2addr_stride64_b32 v[7:8], v33 offset0:16 offset1:18
	ds_load_2addr_stride64_b32 v[9:10], v33 offset0:32 offset1:34
	;; [unrolled: 1-line block ×3, first 2 shown]
	ds_load_b32 v104, v36
	ds_load_b32 v106, v35
	;; [unrolled: 1-line block ×3, first 2 shown]
	ds_load_2addr_stride64_b32 v[13:14], v33 offset0:20 offset1:22
	ds_load_2addr_stride64_b32 v[15:16], v33 offset0:36 offset1:38
	;; [unrolled: 1-line block ×11, first 2 shown]
	global_wb scope:SCOPE_SE
	s_wait_dscnt 0x0
	s_barrier_signal -1
	s_barrier_wait -1
	global_inv scope:SCOPE_SE
	ds_store_2addr_b32 v0, v108, v56 offset1:8
	ds_store_2addr_b32 v0, v48, v102 offset0:16 offset1:24
	ds_store_2addr_b32 v0, v4, v60 offset0:32 offset1:40
	;; [unrolled: 1-line block ×7, first 2 shown]
	ds_store_2addr_b32 v46, v112, v43 offset1:8
	ds_store_2addr_b32 v46, v50, v31 offset0:16 offset1:24
	ds_store_2addr_b32 v46, v5, v103 offset0:32 offset1:40
	;; [unrolled: 1-line block ×3, first 2 shown]
	v_mul_u32_u24_e32 v0, 3, v66
	ds_store_2addr_b32 v46, v45, v111 offset0:64 offset1:72
	ds_store_2addr_b32 v46, v113, v3 offset0:80 offset1:88
	ds_store_2addr_b32 v46, v114, v61 offset0:96 offset1:104
	ds_store_2addr_b32 v46, v44, v109 offset0:112 offset1:120
	global_wb scope:SCOPE_SE
	s_wait_dscnt 0x0
	s_barrier_signal -1
	s_barrier_wait -1
	v_lshlrev_b32_e32 v0, 3, v0
	global_inv scope:SCOPE_SE
	s_clause 0x1
	global_load_b128 v[2:5], v0, s[8:9] offset:960
	global_load_b64 v[41:42], v0, s[8:9] offset:976
	ds_load_2addr_stride64_b32 v[43:44], v33 offset0:16 offset1:18
	ds_load_2addr_stride64_b32 v[45:46], v33 offset0:32 offset1:34
	ds_load_b32 v0, v34
	ds_load_2addr_stride64_b32 v[47:48], v33 offset0:48 offset1:50
	ds_load_b32 v31, v36
	ds_load_b32 v105, v35
	ds_load_b32 v107, v32
	ds_load_2addr_stride64_b32 v[49:50], v33 offset0:20 offset1:22
	ds_load_2addr_stride64_b32 v[51:52], v33 offset0:36 offset1:38
	;; [unrolled: 1-line block ×9, first 2 shown]
	s_wait_loadcnt_dscnt 0x10f
	v_mul_f32_e32 v108, v43, v3
	v_mul_f32_e32 v109, v7, v3
	s_wait_dscnt 0xe
	v_dual_mul_f32 v111, v44, v3 :: v_dual_mul_f32 v112, v45, v5
	s_delay_alu instid0(VALU_DEP_3) | instskip(NEXT) | instid1(VALU_DEP_3)
	v_fma_f32 v7, v7, v2, -v108
	v_dual_mul_f32 v108, v8, v3 :: v_dual_fmac_f32 v109, v43, v2
	v_mul_f32_e32 v43, v46, v5
	s_delay_alu instid0(VALU_DEP_4) | instskip(NEXT) | instid1(VALU_DEP_3)
	v_fma_f32 v8, v8, v2, -v111
	v_dual_mul_f32 v111, v9, v5 :: v_dual_fmac_f32 v108, v44, v2
	s_wait_loadcnt_dscnt 0xc
	v_mul_f32_e32 v44, v47, v42
	v_fma_f32 v9, v9, v4, -v112
	v_mul_f32_e32 v112, v11, v42
	v_fma_f32 v43, v10, v4, -v43
	;; [unrolled: 2-line block ×3, first 2 shown]
	v_mul_f32_e32 v44, v48, v42
	s_wait_dscnt 0x8
	v_dual_fmac_f32 v112, v47, v41 :: v_dual_mul_f32 v47, v50, v3
	v_fmac_f32_e32 v10, v46, v4
	v_mul_f32_e32 v46, v49, v3
	v_fmac_f32_e32 v111, v45, v4
	v_mul_f32_e32 v45, v12, v42
	v_fma_f32 v12, v12, v41, -v44
	v_mul_f32_e32 v44, v13, v3
	v_fma_f32 v13, v13, v2, -v46
	;; [unrolled: 2-line block ×3, first 2 shown]
	v_mul_f32_e32 v47, v15, v5
	v_fmac_f32_e32 v45, v48, v41
	s_wait_dscnt 0x7
	v_mul_f32_e32 v48, v51, v5
	v_fmac_f32_e32 v46, v50, v2
	s_wait_dscnt 0x6
	v_dual_mul_f32 v50, v53, v42 :: v_dual_fmac_f32 v47, v51, v4
	v_mul_f32_e32 v51, v54, v42
	v_fma_f32 v15, v15, v4, -v48
	v_mul_f32_e32 v48, v17, v42
	s_delay_alu instid0(VALU_DEP_4)
	v_fma_f32 v17, v17, v41, -v50
	v_mul_f32_e32 v50, v18, v42
	v_fma_f32 v18, v18, v41, -v51
	s_wait_dscnt 0x5
	v_dual_mul_f32 v51, v55, v3 :: v_dual_sub_f32 v12, v8, v12
	v_dual_fmac_f32 v44, v49, v2 :: v_dual_mul_f32 v49, v52, v5
	v_sub_f32_e32 v10, v105, v10
	v_fmac_f32_e32 v48, v53, v41
	s_delay_alu instid0(VALU_DEP_4) | instskip(SKIP_4) | instid1(VALU_DEP_4)
	v_fma_f32 v8, v8, 2.0, -v12
	v_mul_f32_e32 v53, v21, v3
	v_fma_f32 v49, v16, v4, -v49
	v_mul_f32_e32 v16, v16, v5
	v_sub_f32_e32 v48, v44, v48
	v_dual_fmac_f32 v50, v54, v41 :: v_dual_fmac_f32 v53, v55, v2
	s_wait_dscnt 0x4
	v_mul_f32_e32 v54, v57, v5
	v_fmac_f32_e32 v16, v52, v4
	v_mul_f32_e32 v52, v56, v3
	v_fma_f32 v44, v44, 2.0, -v48
	v_mul_f32_e32 v55, v58, v5
	v_fma_f32 v21, v21, v2, -v51
	v_sub_f32_e32 v17, v13, v17
	v_fma_f32 v51, v22, v2, -v52
	v_mul_f32_e32 v22, v22, v3
	v_mul_f32_e32 v52, v23, v5
	v_fma_f32 v23, v23, v4, -v54
	v_mul_f32_e32 v54, v24, v5
	v_fma_f32 v24, v24, v4, -v55
	s_wait_dscnt 0x2
	v_dual_mul_f32 v55, v61, v3 :: v_dual_fmac_f32 v22, v56, v2
	v_fmac_f32_e32 v52, v57, v4
	v_mul_f32_e32 v56, v29, v3
	v_fmac_f32_e32 v54, v58, v4
	s_wait_dscnt 0x1
	v_mul_f32_e32 v58, v63, v5
	v_fma_f32 v29, v29, v2, -v55
	v_sub_f32_e32 v15, v110, v15
	v_mul_f32_e32 v55, v30, v3
	v_fma_f32 v13, v13, 2.0, -v17
	v_mul_f32_e32 v57, v62, v3
	v_dual_mul_f32 v3, v64, v5 :: v_dual_sub_f32 v18, v14, v18
	v_dual_sub_f32 v23, v19, v23 :: v_dual_fmac_f32 v56, v61, v2
	s_delay_alu instid0(VALU_DEP_3)
	v_fma_f32 v30, v30, v2, -v57
	v_fma_f32 v57, v37, v4, -v58
	v_mul_f32_e32 v58, v38, v5
	v_fma_f32 v38, v38, v4, -v3
	v_sub_f32_e32 v48, v15, v48
	v_fma_f32 v19, v19, 2.0, -v23
	v_fmac_f32_e32 v55, v62, v2
	ds_load_2addr_stride64_b32 v[2:3], v33 offset0:8 offset1:10
	v_dual_mul_f32 v37, v37, v5 :: v_dual_sub_f32 v16, v31, v16
	v_dual_mul_f32 v61, v59, v42 :: v_dual_fmac_f32 v58, v64, v4
	s_delay_alu instid0(VALU_DEP_2)
	v_dual_mul_f32 v64, v26, v42 :: v_dual_fmac_f32 v37, v63, v4
	v_sub_f32_e32 v50, v46, v50
	v_mul_f32_e32 v62, v25, v42
	ds_load_2addr_stride64_b32 v[4:5], v33 offset0:12 offset1:14
	v_fmac_f32_e32 v64, v60, v41
	v_mul_f32_e32 v63, v60, v42
	v_sub_f32_e32 v60, v0, v111
	s_wait_dscnt 0x2
	v_dual_fmac_f32 v62, v59, v41 :: v_dual_mul_f32 v59, v102, v42
	v_fma_f32 v14, v14, 2.0, -v18
	v_sub_f32_e32 v11, v7, v11
	v_fma_f32 v0, v0, 2.0, -v60
	s_delay_alu instid0(VALU_DEP_4)
	v_sub_f32_e32 v62, v53, v62
	v_fma_f32 v31, v31, 2.0, -v16
	s_wait_dscnt 0x1
	v_sub_f32_e32 v52, v2, v52
	v_fma_f32 v25, v25, v41, -v61
	v_sub_f32_e32 v61, v109, v112
	v_fma_f32 v46, v46, 2.0, -v50
	v_sub_f32_e32 v9, v65, v9
	v_fma_f32 v2, v2, 2.0, -v52
	v_fma_f32 v53, v53, 2.0, -v62
	;; [unrolled: 1-line block ×3, first 2 shown]
	v_sub_f32_e32 v46, v31, v46
	v_fma_f32 v26, v26, v41, -v63
	v_mul_f32_e32 v63, v39, v42
	v_fma_f32 v65, v65, 2.0, -v9
	v_sub_f32_e32 v109, v0, v109
	v_fma_f32 v7, v7, 2.0, -v11
	v_fma_f32 v39, v39, v41, -v59
	v_mul_f32_e32 v59, v103, v42
	v_dual_mul_f32 v42, v40, v42 :: v_dual_sub_f32 v53, v2, v53
	s_delay_alu instid0(VALU_DEP_4) | instskip(SKIP_1) | instid1(VALU_DEP_4)
	v_sub_f32_e32 v7, v65, v7
	v_sub_f32_e32 v25, v21, v25
	v_fma_f32 v40, v40, v41, -v59
	s_delay_alu instid0(VALU_DEP_4)
	v_fmac_f32_e32 v42, v103, v41
	v_fma_f32 v59, v0, 2.0, -v109
	v_dual_sub_f32 v0, v106, v43 :: v_dual_sub_f32 v45, v108, v45
	v_fma_f32 v103, v110, 2.0, -v15
	v_fma_f32 v110, v2, 2.0, -v53
	v_sub_f32_e32 v2, v20, v24
	v_sub_f32_e32 v24, v3, v54
	v_fma_f32 v21, v21, 2.0, -v25
	s_wait_dscnt 0x0
	v_sub_f32_e32 v37, v4, v37
	global_wb scope:SCOPE_SE
	v_fma_f32 v20, v20, 2.0, -v2
	v_fma_f32 v3, v3, 2.0, -v24
	v_sub_f32_e32 v43, v9, v61
	v_add_f32_e32 v61, v60, v11
	v_fma_f32 v11, v106, 2.0, -v0
	v_add_f32_e32 v106, v10, v12
	v_sub_f32_e32 v12, v103, v13
	v_sub_f32_e32 v13, v104, v49
	v_fmac_f32_e32 v63, v102, v41
	v_fma_f32 v41, v65, 2.0, -v7
	v_fma_f32 v65, v105, 2.0, -v10
	;; [unrolled: 1-line block ×3, first 2 shown]
	v_sub_f32_e32 v50, v13, v50
	v_fma_f32 v4, v4, 2.0, -v37
	v_sub_f32_e32 v8, v11, v8
	s_barrier_signal -1
	v_dual_sub_f32 v102, v65, v102 :: v_dual_sub_f32 v47, v107, v47
	s_barrier_wait -1
	s_delay_alu instid0(VALU_DEP_2)
	v_fma_f32 v11, v11, 2.0, -v8
	global_inv scope:SCOPE_SE
	v_fma_f32 v65, v65, 2.0, -v102
	v_fma_f32 v105, v107, 2.0, -v47
	v_add_f32_e32 v49, v47, v17
	v_fma_f32 v17, v104, 2.0, -v13
	v_add_f32_e32 v104, v16, v18
	v_sub_f32_e32 v18, v19, v21
	v_sub_f32_e32 v44, v105, v44
	v_fma_f32 v107, v10, 2.0, -v106
	v_fma_f32 v10, v103, 2.0, -v12
	;; [unrolled: 1-line block ×4, first 2 shown]
	v_dual_sub_f32 v19, v51, v26 :: v_dual_sub_f32 v26, v22, v64
	v_fma_f32 v103, v105, 2.0, -v44
	v_fma_f32 v105, v31, 2.0, -v46
	v_sub_f32_e32 v21, v23, v62
	s_delay_alu instid0(VALU_DEP_4) | instskip(SKIP_3) | instid1(VALU_DEP_4)
	v_fma_f32 v31, v51, 2.0, -v19
	v_fma_f32 v22, v22, 2.0, -v26
	v_dual_add_f32 v51, v52, v25 :: v_dual_sub_f32 v14, v17, v14
	v_fma_f32 v13, v13, 2.0, -v50
	v_sub_f32_e32 v25, v20, v31
	v_sub_f32_e32 v31, v27, v57
	v_sub_f32_e32 v54, v3, v22
	v_sub_f32_e32 v22, v29, v39
	v_sub_f32_e32 v39, v56, v63
	v_add_f32_e32 v57, v24, v19
	v_fma_f32 v27, v27, 2.0, -v31
	v_fma_f32 v9, v9, 2.0, -v43
	;; [unrolled: 1-line block ×5, first 2 shown]
	v_dual_sub_f32 v24, v5, v58 :: v_dual_sub_f32 v45, v0, v45
	s_delay_alu instid0(VALU_DEP_4)
	v_sub_f32_e32 v29, v27, v29
	v_fma_f32 v56, v3, 2.0, -v54
	v_sub_f32_e32 v63, v4, v19
	v_sub_f32_e32 v19, v28, v38
	ds_store_b32 v33, v41
	ds_store_b32 v35, v9
	v_fma_f32 v3, v27, 2.0, -v29
	v_sub_f32_e32 v27, v30, v40
	v_lshl_add_u32 v41, v88, 2, v6
	v_fma_f32 v0, v0, 2.0, -v45
	v_lshl_add_u32 v88, v96, 2, v6
	v_lshl_add_u32 v96, v100, 2, v6
	ds_store_b32 v32, v7
	ds_store_b32 v36, v43
	ds_store_b32 v41, v11
	ds_store_b32 v88, v0
	ds_store_b32 v96, v8
	v_lshl_add_u32 v43, v77, 2, v6
	v_fma_f32 v28, v28, 2.0, -v19
	v_fma_f32 v30, v30, 2.0, -v27
	v_lshl_add_u32 v77, v85, 2, v6
	v_sub_f32_e32 v38, v55, v42
	v_add_f32_e32 v42, v37, v22
	v_fma_f32 v15, v15, 2.0, -v48
	v_sub_f32_e32 v39, v31, v39
	v_lshl_add_u32 v85, v93, 2, v6
	v_lshl_add_u32 v93, v99, 2, v6
	;; [unrolled: 1-line block ×3, first 2 shown]
	v_fma_f32 v17, v17, 2.0, -v14
	ds_store_b32 v43, v45
	ds_store_b32 v77, v10
	;; [unrolled: 1-line block ×5, first 2 shown]
	v_lshl_add_u32 v45, v82, 2, v6
	v_sub_f32_e32 v30, v28, v30
	v_lshl_add_u32 v48, v90, 2, v6
	v_fma_f32 v22, v31, 2.0, -v39
	v_sub_f32_e32 v31, v19, v38
	v_lshl_add_u32 v82, v97, 2, v6
	v_sub_f32_e32 v26, v2, v26
	v_fma_f32 v23, v23, 2.0, -v21
	v_fma_f32 v40, v55, 2.0, -v38
	v_add_f32_e32 v55, v24, v27
	ds_store_b32 v45, v17
	ds_store_b32 v48, v13
	;; [unrolled: 1-line block ×5, first 2 shown]
	v_lshl_add_u32 v50, v86, 2, v6
	v_fma_f32 v27, v28, 2.0, -v30
	v_lshl_add_u32 v86, v95, 2, v6
	v_fma_f32 v19, v19, 2.0, -v31
	;; [unrolled: 2-line block ×3, first 2 shown]
	v_fma_f32 v2, v2, 2.0, -v26
	v_fma_f32 v5, v5, 2.0, -v24
	;; [unrolled: 1-line block ×4, first 2 shown]
	ds_store_b32 v50, v23
	ds_store_b32 v86, v18
	;; [unrolled: 1-line block ×15, first 2 shown]
	global_wb scope:SCOPE_SE
	s_wait_dscnt 0x0
	s_barrier_signal -1
	s_barrier_wait -1
	global_inv scope:SCOPE_SE
	ds_load_b32 v39, v34
	ds_load_2addr_stride64_b32 v[6:7], v33 offset0:8 offset1:10
	ds_load_2addr_stride64_b32 v[2:3], v33 offset0:16 offset1:18
	;; [unrolled: 1-line block ×7, first 2 shown]
	ds_load_b32 v38, v36
	ds_load_b32 v0, v35
	;; [unrolled: 1-line block ×3, first 2 shown]
	ds_load_2addr_stride64_b32 v[24:25], v33 offset0:12 offset1:14
	ds_load_2addr_stride64_b32 v[22:23], v33 offset0:20 offset1:22
	;; [unrolled: 1-line block ×7, first 2 shown]
	v_sub_f32_e32 v40, v5, v40
	v_fma_f32 v60, v60, 2.0, -v61
	v_fma_f32 v47, v47, 2.0, -v49
	;; [unrolled: 1-line block ×5, first 2 shown]
	global_wb scope:SCOPE_SE
	s_wait_dscnt 0x0
	s_barrier_signal -1
	s_barrier_wait -1
	global_inv scope:SCOPE_SE
	ds_store_b32 v33, v59
	ds_store_b32 v35, v60
	;; [unrolled: 1-line block ×32, first 2 shown]
	global_wb scope:SCOPE_SE
	s_wait_dscnt 0x0
	s_barrier_signal -1
	s_barrier_wait -1
	global_inv scope:SCOPE_SE
	s_and_saveexec_b32 s10, vcc_lo
	s_cbranch_execz .LBB0_10
; %bb.9:
	v_mul_u32_u24_e32 v4, 7, v66
	v_mul_lo_u32 v135, s4, v70
	v_mul_lo_u32 v134, s5, v69
	v_mad_co_u64_u32 v[122:123], null, s4, v69, 0
	s_delay_alu instid0(VALU_DEP_4)
	v_dual_mov_b32 v5, 0 :: v_dual_lshlrev_b32 v54, 3, v4
	v_mul_i32_i24_e32 v4, 7, v73
	v_mul_lo_u32 v69, s3, v67
	v_mul_lo_u32 v136, s2, v68
	s_clause 0x3
	global_load_b128 v[40:43], v54, s[8:9] offset:4048
	global_load_b128 v[44:47], v54, s[8:9] offset:4032
	;; [unrolled: 1-line block ×3, first 2 shown]
	global_load_b64 v[64:65], v54, s[8:9] offset:4080
	v_lshlrev_b64_e32 v[52:53], 3, v[4:5]
	v_mul_i32_i24_e32 v4, 7, v72
	v_mad_co_u64_u32 v[67:68], null, s2, v67, 0
	s_load_b64 s[0:1], s[0:1], 0x58
	v_add3_u32 v123, v123, v135, v134
	s_delay_alu instid0(VALU_DEP_4) | instskip(SKIP_2) | instid1(VALU_DEP_4)
	v_add_co_u32 v73, vcc_lo, s8, v52
	s_wait_alu 0xfffd
	v_add_co_ci_u32_e32 v74, vcc_lo, s9, v53, vcc_lo
	v_add3_u32 v68, v68, v136, v69
	s_clause 0x3
	global_load_b128 v[52:55], v[73:74], off offset:4048
	global_load_b128 v[56:59], v[73:74], off offset:4032
	;; [unrolled: 1-line block ×3, first 2 shown]
	global_load_b64 v[96:97], v[73:74], off offset:4080
	v_lshlrev_b64_e32 v[72:73], 3, v[4:5]
	v_mul_i32_i24_e32 v4, 7, v71
	v_mad_co_u64_u32 v[70:71], null, s6, v1, 0
	s_delay_alu instid0(VALU_DEP_3) | instskip(SKIP_1) | instid1(VALU_DEP_4)
	v_add_co_u32 v84, vcc_lo, s8, v72
	s_wait_alu 0xfffd
	v_add_co_ci_u32_e32 v85, vcc_lo, s9, v73, vcc_lo
	s_clause 0x3
	global_load_b128 v[72:75], v[84:85], off offset:4048
	global_load_b128 v[76:79], v[84:85], off offset:4032
	;; [unrolled: 1-line block ×3, first 2 shown]
	global_load_b64 v[98:99], v[84:85], off offset:4080
	v_lshlrev_b64_e32 v[84:85], 3, v[4:5]
	v_mov_b32_e32 v4, v71
	s_delay_alu instid0(VALU_DEP_2) | instskip(SKIP_1) | instid1(VALU_DEP_3)
	v_add_co_u32 v100, vcc_lo, s8, v84
	s_wait_alu 0xfffd
	v_add_co_ci_u32_e32 v101, vcc_lo, s9, v85, vcc_lo
	s_clause 0x3
	global_load_b128 v[84:87], v[100:101], off offset:4032
	global_load_b128 v[88:91], v[100:101], off offset:4064
	;; [unrolled: 1-line block ×3, first 2 shown]
	global_load_b64 v[100:101], v[100:101], off offset:4080
	ds_load_2addr_stride64_b32 v[102:103], v33 offset0:32 offset1:34
	ds_load_2addr_stride64_b32 v[104:105], v33 offset0:24 offset1:26
	;; [unrolled: 1-line block ×14, first 2 shown]
	v_mad_co_u64_u32 v[132:133], null, s7, v1, v[4:5]
	ds_load_b32 v1, v34
	ds_load_b32 v4, v36
	ds_load_b32 v33, v35
	ds_load_b32 v32, v32
	s_wait_loadcnt_dscnt 0xf11
	v_dual_mov_b32 v71, v132 :: v_dual_mul_f32 v34, v42, v102
	s_wait_dscnt 0x10
	v_mul_f32_e32 v35, v40, v104
	v_dual_mul_f32 v36, v41, v104 :: v_dual_mul_f32 v69, v43, v102
	s_wait_loadcnt_dscnt 0xe0e
	v_mul_f32_e32 v104, v45, v108
	s_wait_loadcnt_dscnt 0xd0b
	v_dual_mul_f32 v108, v44, v108 :: v_dual_mul_f32 v133, v49, v114
	v_mul_f32_e32 v114, v48, v114
	v_dual_mul_f32 v102, v47, v106 :: v_dual_fmac_f32 v35, v14, v41
	s_wait_loadcnt_dscnt 0xc07
	v_dual_mul_f32 v106, v46, v106 :: v_dual_mul_f32 v41, v65, v124
	v_mul_f32_e32 v132, v51, v112
	v_fmac_f32_e32 v34, v8, v43
	v_fma_f32 v14, v14, v40, -v36
	v_mul_f32_e32 v36, v50, v112
	v_mul_f32_e32 v40, v64, v124
	v_fmac_f32_e32 v108, v6, v45
	s_wait_loadcnt 0xa
	v_dual_fmac_f32 v114, v12, v49 :: v_dual_mul_f32 v45, v59, v119
	v_fma_f32 v43, v6, v44, -v104
	v_fma_f32 v6, v12, v48, -v133
	v_mul_f32_e32 v12, v54, v111
	v_fma_f32 v8, v8, v42, -v69
	v_fma_f32 v42, v2, v46, -v102
	v_fmac_f32_e32 v40, v16, v65
	v_mul_f32_e32 v44, v55, v111
	v_fmac_f32_e32 v12, v29, v55
	v_mul_f32_e32 v46, v57, v121
	s_wait_loadcnt 0x7
	v_mul_f32_e32 v55, v73, v116
	v_dual_mul_f32 v65, v75, v110 :: v_dual_fmac_f32 v106, v2, v47
	v_fma_f32 v2, v10, v50, -v132
	v_dual_mul_f32 v47, v56, v121 :: v_dual_fmac_f32 v36, v10, v51
	v_fma_f32 v10, v16, v64, -v41
	v_mul_f32_e32 v16, v52, v117
	v_mul_f32_e32 v41, v53, v117
	s_wait_dscnt 0x5
	v_mul_f32_e32 v50, v96, v129
	v_mul_f32_e32 v51, v97, v129
	v_fmac_f32_e32 v47, v25, v57
	s_wait_loadcnt 0x6
	v_dual_mul_f32 v57, v78, v118 :: v_dual_fmac_f32 v16, v31, v53
	v_sub_f32_e32 v53, v108, v114
	v_mul_f32_e32 v49, v63, v127
	v_fma_f32 v31, v31, v52, -v41
	s_delay_alu instid0(VALU_DEP_4)
	v_fmac_f32_e32 v57, v22, v79
	s_wait_dscnt 0x4
	v_mul_f32_e32 v41, v61, v131
	v_mul_f32_e32 v52, v62, v127
	v_fma_f32 v69, v108, 2.0, -v53
	v_fmac_f32_e32 v50, v27, v97
	v_fma_f32 v27, v27, v96, -v51
	v_sub_f32_e32 v2, v42, v2
	v_fma_f32 v49, v21, v62, -v49
	v_fma_f32 v41, v19, v60, -v41
	v_mul_f32_e32 v48, v58, v119
	v_sub_f32_e32 v27, v31, v27
	v_fma_f32 v42, v42, 2.0, -v2
	v_fmac_f32_e32 v52, v21, v63
	s_wait_loadcnt 0x5
	v_mul_f32_e32 v21, v81, v130
	v_fma_f32 v29, v29, v54, -v44
	v_mul_f32_e32 v44, v60, v131
	v_sub_f32_e32 v36, v106, v36
	v_mul_f32_e32 v54, v72, v116
	v_mul_f32_e32 v64, v74, v110
	s_wait_loadcnt 0x4
	v_dual_mul_f32 v51, v98, v128 :: v_dual_fmac_f32 v44, v19, v61
	v_mul_f32_e32 v19, v83, v126
	v_fma_f32 v46, v25, v56, -v46
	s_wait_dscnt 0x3
	v_dual_mul_f32 v25, v76, v120 :: v_dual_sub_f32 v34, v1, v34
	v_fmac_f32_e32 v51, v26, v99
	v_sub_f32_e32 v10, v14, v10
	v_dual_sub_f32 v41, v46, v41 :: v_dual_fmac_f32 v48, v23, v59
	v_dual_mul_f32 v59, v80, v130 :: v_dual_sub_f32 v8, v39, v8
	v_fma_f32 v45, v23, v58, -v45
	v_dual_mul_f32 v23, v77, v120 :: v_dual_mul_f32 v56, v79, v118
	v_fmac_f32_e32 v64, v28, v75
	v_fma_f32 v28, v28, v74, -v65
	v_fmac_f32_e32 v25, v24, v77
	v_fmac_f32_e32 v59, v18, v81
	;; [unrolled: 1-line block ×3, first 2 shown]
	s_wait_loadcnt 0x0
	v_mul_f32_e32 v65, v100, v125
	v_fma_f32 v62, v106, 2.0, -v36
	v_sub_f32_e32 v36, v8, v36
	v_mul_f32_e32 v58, v99, v128
	v_dual_sub_f32 v6, v43, v6 :: v_dual_sub_f32 v29, v38, v29
	v_dual_sub_f32 v40, v35, v40 :: v_dual_add_f32 v61, v2, v34
	v_fma_f32 v39, v39, 2.0, -v8
	v_fma_f32 v30, v30, v72, -v55
	v_fma_f32 v23, v24, v76, -v23
	v_mul_f32_e32 v55, v85, v109
	v_fma_f32 v14, v14, 2.0, -v10
	v_mul_f32_e32 v75, v88, v115
	s_wait_dscnt 0x2
	v_dual_sub_f32 v12, v4, v12 :: v_dual_mul_f32 v77, v86, v107
	v_fma_f32 v24, v22, v78, -v56
	v_fma_f32 v22, v26, v98, -v58
	v_fmac_f32_e32 v75, v13, v89
	s_delay_alu instid0(VALU_DEP_4)
	v_dual_sub_f32 v26, v45, v49 :: v_dual_fmac_f32 v77, v3, v87
	v_sub_f32_e32 v49, v16, v50
	v_fmac_f32_e32 v65, v17, v101
	v_add_f32_e32 v10, v53, v10
	v_fma_f32 v63, v1, 2.0, -v34
	v_fma_f32 v43, v43, 2.0, -v6
	v_dual_sub_f32 v79, v39, v42 :: v_dual_add_f32 v42, v26, v12
	v_fma_f32 v26, v45, 2.0, -v26
	s_wait_dscnt 0x0
	v_sub_f32_e32 v45, v32, v64
	v_fma_f32 v81, v53, 2.0, -v10
	v_sub_f32_e32 v53, v41, v49
	v_fma_f32 v35, v35, 2.0, -v40
	v_fma_f32 v19, v20, v82, -v19
	v_sub_f32_e32 v62, v63, v62
	v_fma_f32 v46, v46, 2.0, -v41
	v_fma_f32 v16, v16, 2.0, -v49
	v_dual_sub_f32 v22, v30, v22 :: v_dual_sub_f32 v49, v25, v59
	v_mul_f32_e32 v74, v84, v109
	v_fma_f32 v41, v41, 2.0, -v53
	v_sub_f32_e32 v14, v43, v14
	v_sub_f32_e32 v50, v48, v52
	v_fma_f32 v21, v18, v80, -v21
	v_dual_sub_f32 v40, v6, v40 :: v_dual_sub_f32 v35, v69, v35
	v_fma_f32 v80, v34, 2.0, -v61
	v_mul_f32_e32 v18, v87, v107
	v_fma_f32 v4, v4, 2.0, -v12
	v_dual_sub_f32 v19, v24, v19 :: v_dual_sub_f32 v44, v47, v44
	v_mul_f32_e32 v60, v82, v126
	v_fma_f32 v55, v7, v84, -v55
	v_dual_add_f32 v59, v49, v22 :: v_dual_fmac_f32 v74, v7, v85
	v_add_f32_e32 v7, v62, v14
	v_fma_f32 v48, v48, 2.0, -v50
	v_fmac_f32_e32 v60, v20, v83
	v_dual_mul_f32 v20, v91, v113 :: v_dual_add_f32 v83, v44, v27
	v_fma_f32 v27, v31, 2.0, -v27
	v_mul_f32_e32 v58, v92, v105
	v_fma_f32 v31, v38, 2.0, -v29
	v_fma_f32 v38, v47, 2.0, -v44
	v_sub_f32_e32 v47, v23, v21
	v_sub_f32_e32 v27, v46, v27
	v_fma_f32 v34, v6, 2.0, -v40
	v_sub_f32_e32 v21, v54, v51
	v_fma_f32 v51, v3, v86, -v18
	v_fma_f32 v3, v69, 2.0, -v35
	v_dual_sub_f32 v6, v79, v35 :: v_dual_sub_f32 v35, v4, v48
	v_mul_f32_e32 v56, v89, v115
	v_mul_f32_e32 v73, v101, v125
	v_dual_fmamk_f32 v1, v40, 0x3f3504f3, v36 :: v_dual_sub_f32 v96, v29, v50
	v_fma_f32 v18, v11, v90, -v20
	v_mul_f32_e32 v72, v93, v105
	v_fma_f32 v4, v4, 2.0, -v35
	v_fmac_f32_e32 v58, v15, v93
	v_dual_mul_f32 v76, v95, v103 :: v_dual_fmac_f32 v1, 0xbf3504f3, v10
	v_fma_f32 v64, v63, 2.0, -v62
	v_fma_f32 v69, v39, 2.0, -v79
	;; [unrolled: 1-line block ×3, first 2 shown]
	v_sub_f32_e32 v39, v38, v16
	v_fma_f32 v43, v44, 2.0, -v83
	v_fma_f32 v44, v29, 2.0, -v96
	v_add_f32_e32 v48, v19, v45
	v_dual_sub_f32 v28, v37, v28 :: v_dual_sub_f32 v29, v47, v21
	v_fma_f32 v20, v13, v88, -v56
	v_fma_f32 v22, v30, 2.0, -v22
	v_fma_f32 v63, v25, 2.0, -v49
	v_sub_f32_e32 v25, v51, v18
	v_fma_f32 v56, v15, v92, -v72
	v_fma_f32 v15, v17, v100, -v73
	v_mul_f32_e32 v78, v90, v113
	v_sub_f32_e32 v30, v58, v65
	v_sub_f32_e32 v50, v57, v60
	v_mul_f32_e32 v52, v94, v103
	v_fma_f32 v13, v9, v94, -v76
	v_sub_f32_e32 v65, v56, v15
	v_fma_f32 v82, v8, 2.0, -v36
	v_sub_f32_e32 v60, v28, v50
	v_fma_f32 v50, v57, 2.0, -v50
	v_fma_f32 v57, v23, 2.0, -v47
	;; [unrolled: 1-line block ×4, first 2 shown]
	v_sub_f32_e32 v54, v55, v20
	v_fmamk_f32 v21, v59, 0x3f3504f3, v48
	v_fmac_f32_e32 v78, v11, v91
	v_fmamk_f32 v11, v83, 0x3f3504f3, v42
	v_fmac_f32_e32 v52, v9, v95
	v_fmamk_f32 v9, v81, 0xbf3504f3, v80
	v_fma_f32 v32, v32, 2.0, -v45
	v_sub_f32_e32 v73, v0, v13
	v_fmac_f32_e32 v11, 0x3f3504f3, v53
	v_add_f32_e32 v17, v35, v27
	v_fmac_f32_e32 v21, 0x3f3504f3, v29
	v_fmamk_f32 v2, v10, 0x3f3504f3, v61
	v_fmamk_f32 v10, v53, 0x3f3504f3, v96
	v_fma_f32 v53, v45, 2.0, -v48
	v_fma_f32 v45, v47, 2.0, -v29
	;; [unrolled: 1-line block ×3, first 2 shown]
	v_sub_f32_e32 v49, v54, v30
	v_sub_f32_e32 v26, v31, v26
	v_fmamk_f32 v8, v34, 0xbf3504f3, v82
	v_fma_f32 v37, v37, 2.0, -v28
	v_dual_sub_f32 v72, v74, v75 :: v_dual_sub_f32 v75, v77, v78
	s_delay_alu instid0(VALU_DEP_4)
	v_dual_fmac_f32 v9, 0x3f3504f3, v34 :: v_dual_sub_f32 v16, v26, v39
	v_fma_f32 v34, v38, 2.0, -v39
	v_dual_fmamk_f32 v20, v29, 0x3f3504f3, v60 :: v_dual_sub_f32 v39, v63, v24
	v_fma_f32 v0, v0, 2.0, -v73
	v_fma_f32 v51, v51, 2.0, -v25
	v_fmac_f32_e32 v2, 0x3f3504f3, v40
	v_fma_f32 v40, v12, 2.0, -v42
	v_fma_f32 v12, v36, 2.0, -v1
	;; [unrolled: 1-line block ×4, first 2 shown]
	v_sub_f32_e32 v46, v32, v50
	v_fmamk_f32 v18, v41, 0xbf3504f3, v44
	v_sub_f32_e32 v38, v57, v22
	v_sub_f32_e32 v50, v37, v23
	v_fma_f32 v23, v42, 2.0, -v11
	v_fma_f32 v24, v26, 2.0, -v16
	v_sub_f32_e32 v26, v36, v31
	v_dual_fmac_f32 v20, 0xbf3504f3, v59 :: v_dual_fmamk_f32 v31, v47, 0xbf3504f3, v53
	v_fma_f32 v59, v32, 2.0, -v46
	v_fma_f32 v42, v63, 2.0, -v39
	v_dual_sub_f32 v52, v33, v52 :: v_dual_fmamk_f32 v19, v43, 0xbf3504f3, v40
	v_add_f32_e32 v76, v72, v65
	v_sub_f32_e32 v78, v73, v75
	v_fma_f32 v75, v77, 2.0, -v75
	v_fma_f32 v56, v56, 2.0, -v65
	v_dual_fmac_f32 v18, 0xbf3504f3, v43 :: v_dual_sub_f32 v43, v59, v42
	v_sub_f32_e32 v27, v4, v34
	v_fma_f32 v58, v58, 2.0, -v30
	v_add_f32_e32 v29, v46, v38
	v_fma_f32 v65, v74, 2.0, -v72
	v_fmac_f32_e32 v31, 0x3f3504f3, v45
	v_fmac_f32_e32 v10, 0xbf3504f3, v83
	v_fma_f32 v83, v33, 2.0, -v52
	v_fma_f32 v63, v37, 2.0, -v50
	;; [unrolled: 1-line block ×5, first 2 shown]
	v_sub_f32_e32 v74, v83, v75
	v_sub_f32_e32 v75, v0, v51
	v_fma_f32 v13, v61, 2.0, -v2
	v_fma_f32 v61, v28, 2.0, -v60
	v_dual_sub_f32 v51, v65, v58 :: v_dual_sub_f32 v42, v63, v57
	v_fma_f32 v4, v83, 2.0, -v74
	v_add_f32_e32 v62, v25, v52
	s_delay_alu instid0(VALU_DEP_4) | instskip(NEXT) | instid1(VALU_DEP_4)
	v_fmamk_f32 v30, v45, 0xbf3504f3, v61
	v_fma_f32 v57, v65, 2.0, -v51
	v_dual_fmac_f32 v19, 0x3f3504f3, v41 :: v_dual_sub_f32 v28, v50, v39
	s_delay_alu instid0(VALU_DEP_4) | instskip(NEXT) | instid1(VALU_DEP_3)
	v_fmamk_f32 v33, v76, 0x3f3504f3, v62
	v_dual_fmac_f32 v30, 0xbf3504f3, v47 :: v_dual_sub_f32 v57, v4, v57
	v_fma_f32 v58, v52, 2.0, -v62
	v_fma_f32 v72, v72, 2.0, -v76
	v_fma_f32 v25, v35, 2.0, -v17
	v_fma_f32 v35, v40, 2.0, -v19
	v_fma_f32 v39, v48, 2.0, -v21
	v_fma_f32 v40, v50, 2.0, -v28
	v_fma_f32 v48, v61, 2.0, -v30
	v_fma_f32 v50, v63, 2.0, -v42
	v_fma_f32 v61, v4, 2.0, -v57
	v_sub_f32_e32 v63, v64, v3
	v_lshlrev_b64_e32 v[3:4], 3, v[70:71]
	v_fmac_f32_e32 v33, 0x3f3504f3, v49
	v_fmamk_f32 v47, v72, 0xbf3504f3, v58
	v_fma_f32 v55, v55, 2.0, -v54
	v_fmamk_f32 v32, v49, 0x3f3504f3, v78
	v_fma_f32 v54, v54, 2.0, -v49
	v_fma_f32 v49, v53, 2.0, -v31
	;; [unrolled: 1-line block ×3, first 2 shown]
	v_sub_f32_e32 v62, v69, v14
	s_wait_kmcnt 0x0
	v_add_co_u32 v14, vcc_lo, s0, v3
	v_fma_f32 v73, v73, 2.0, -v78
	v_fma_f32 v70, v64, 2.0, -v63
	s_wait_alu 0xfffd
	v_add_co_ci_u32_e32 v64, vcc_lo, s1, v4, vcc_lo
	v_lshlrev_b64_e32 v[3:4], 3, v[67:68]
	v_dual_sub_f32 v56, v55, v56 :: v_dual_add_nc_u32 v67, 0x80, v66
	v_fma_f32 v0, v0, 2.0, -v75
	v_fmac_f32_e32 v8, 0xbf3504f3, v81
	v_fma_f32 v69, v69, 2.0, -v62
	s_delay_alu instid0(VALU_DEP_4)
	v_lshlrev_b32_e32 v68, 3, v67
	v_and_b32_e32 v67, 0x1ff, v67
	v_fma_f32 v41, v46, 2.0, -v29
	v_fmamk_f32 v46, v54, 0xbf3504f3, v73
	v_add_f32_e32 v45, v74, v56
	v_fma_f32 v56, v55, 2.0, -v56
	v_fma_f32 v38, v60, 2.0, -v20
	;; [unrolled: 1-line block ×3, first 2 shown]
	v_fmac_f32_e32 v46, 0xbf3504f3, v72
	v_lshlrev_b64_e32 v[71:72], 3, v[122:123]
	v_dual_sub_f32 v56, v0, v56 :: v_dual_fmac_f32 v47, 0x3f3504f3, v54
	v_fma_f32 v34, v44, 2.0, -v18
	v_sub_f32_e32 v44, v75, v51
	v_fmac_f32_e32 v32, 0xbf3504f3, v76
	s_delay_alu instid0(VALU_DEP_4) | instskip(SKIP_4) | instid1(VALU_DEP_3)
	v_fma_f32 v60, v0, 2.0, -v56
	v_and_b32_e32 v0, 0x1ff, v66
	v_add_co_u32 v14, vcc_lo, v14, v71
	s_wait_alu 0xfffd
	v_add_co_ci_u32_e32 v64, vcc_lo, v64, v72, vcc_lo
	v_lshlrev_b32_e32 v0, 3, v0
	s_delay_alu instid0(VALU_DEP_3) | instskip(SKIP_1) | instid1(VALU_DEP_3)
	v_add_co_u32 v71, vcc_lo, v14, v3
	s_wait_alu 0xfffd
	v_add_co_ci_u32_e32 v72, vcc_lo, v64, v4, vcc_lo
	v_and_or_b32 v4, 0xfffff000, v68, v67
	s_delay_alu instid0(VALU_DEP_3) | instskip(SKIP_1) | instid1(VALU_DEP_3)
	v_add_co_u32 v67, vcc_lo, v71, v0
	s_wait_alu 0xfffd
	v_add_co_ci_u32_e32 v68, vcc_lo, 0, v72, vcc_lo
	v_add_nc_u32_e32 v0, 0x100, v66
	v_fma_f32 v64, v82, 2.0, -v8
	v_fma_f32 v14, v79, 2.0, -v6
	v_lshlrev_b64_e32 v[3:4], 3, v[4:5]
	s_clause 0x3
	global_store_b64 v[67:68], v[69:70], off
	global_store_b64 v[67:68], v[64:65], off offset:4096
	global_store_b64 v[67:68], v[14:15], off offset:8192
	;; [unrolled: 1-line block ×3, first 2 shown]
	v_lshlrev_b32_e32 v14, 3, v0
	v_and_b32_e32 v0, 0x1ff, v0
	s_clause 0x3
	global_store_b64 v[67:68], v[62:63], off offset:16384
	global_store_b64 v[67:68], v[8:9], off offset:20480
	;; [unrolled: 1-line block ×4, first 2 shown]
	v_add_nc_u32_e32 v2, 0x180, v66
	v_add_co_u32 v12, vcc_lo, v71, v3
	s_wait_alu 0xfffd
	v_add_co_ci_u32_e32 v13, vcc_lo, v72, v4, vcc_lo
	s_delay_alu instid0(VALU_DEP_3)
	v_lshlrev_b32_e32 v3, 3, v2
	v_and_or_b32 v4, 0xfffff000, v14, v0
	v_and_b32_e32 v2, 0x1ff, v2
	v_fma_f32 v51, v59, 2.0, -v43
	v_fma_f32 v59, v58, 2.0, -v47
	;; [unrolled: 1-line block ×3, first 2 shown]
	v_lshlrev_b64_e32 v[0:1], 3, v[4:5]
	v_and_or_b32 v4, 0xfffff000, v3, v2
	v_fma_f32 v55, v74, 2.0, -v45
	v_fma_f32 v54, v75, 2.0, -v44
	;; [unrolled: 1-line block ×4, first 2 shown]
	v_lshlrev_b64_e32 v[2:3], 3, v[4:5]
	v_add_co_u32 v0, vcc_lo, v71, v0
	s_wait_alu 0xfffd
	v_add_co_ci_u32_e32 v1, vcc_lo, v72, v1, vcc_lo
	v_fma_f32 v22, v96, 2.0, -v10
	s_delay_alu instid0(VALU_DEP_4)
	v_add_co_u32 v2, vcc_lo, v71, v2
	s_wait_alu 0xfffd
	v_add_co_ci_u32_e32 v3, vcc_lo, v72, v3, vcc_lo
	s_clause 0x17
	global_store_b64 v[12:13], v[60:61], off
	global_store_b64 v[12:13], v[58:59], off offset:4096
	global_store_b64 v[12:13], v[54:55], off offset:8192
	global_store_b64 v[12:13], v[52:53], off offset:12288
	global_store_b64 v[12:13], v[56:57], off offset:16384
	global_store_b64 v[12:13], v[46:47], off offset:20480
	global_store_b64 v[12:13], v[44:45], off offset:24576
	global_store_b64 v[12:13], v[32:33], off offset:28672
	global_store_b64 v[0:1], v[50:51], off
	global_store_b64 v[0:1], v[48:49], off offset:4096
	global_store_b64 v[0:1], v[40:41], off offset:8192
	global_store_b64 v[0:1], v[38:39], off offset:12288
	global_store_b64 v[0:1], v[42:43], off offset:16384
	global_store_b64 v[0:1], v[30:31], off offset:20480
	global_store_b64 v[0:1], v[28:29], off offset:24576
	global_store_b64 v[0:1], v[20:21], off offset:28672
	;; [unrolled: 8-line block ×3, first 2 shown]
.LBB0_10:
	s_nop 0
	s_sendmsg sendmsg(MSG_DEALLOC_VGPRS)
	s_endpgm
	.section	.rodata,"a",@progbits
	.p2align	6, 0x0
	.amdhsa_kernel fft_rtc_fwd_len4096_factors_8_16_4_8_wgs_256_tpt_128_halfLds_dim3_sp_op_CI_CI_unitstride_sbrr_dirReg
		.amdhsa_group_segment_fixed_size 0
		.amdhsa_private_segment_fixed_size 0
		.amdhsa_kernarg_size 96
		.amdhsa_user_sgpr_count 2
		.amdhsa_user_sgpr_dispatch_ptr 0
		.amdhsa_user_sgpr_queue_ptr 0
		.amdhsa_user_sgpr_kernarg_segment_ptr 1
		.amdhsa_user_sgpr_dispatch_id 0
		.amdhsa_user_sgpr_private_segment_size 0
		.amdhsa_wavefront_size32 1
		.amdhsa_uses_dynamic_stack 0
		.amdhsa_enable_private_segment 0
		.amdhsa_system_sgpr_workgroup_id_x 1
		.amdhsa_system_sgpr_workgroup_id_y 0
		.amdhsa_system_sgpr_workgroup_id_z 0
		.amdhsa_system_sgpr_workgroup_info 0
		.amdhsa_system_vgpr_workitem_id 0
		.amdhsa_next_free_vgpr 137
		.amdhsa_next_free_sgpr 18
		.amdhsa_reserve_vcc 1
		.amdhsa_float_round_mode_32 0
		.amdhsa_float_round_mode_16_64 0
		.amdhsa_float_denorm_mode_32 3
		.amdhsa_float_denorm_mode_16_64 3
		.amdhsa_fp16_overflow 0
		.amdhsa_workgroup_processor_mode 1
		.amdhsa_memory_ordered 1
		.amdhsa_forward_progress 0
		.amdhsa_round_robin_scheduling 0
		.amdhsa_exception_fp_ieee_invalid_op 0
		.amdhsa_exception_fp_denorm_src 0
		.amdhsa_exception_fp_ieee_div_zero 0
		.amdhsa_exception_fp_ieee_overflow 0
		.amdhsa_exception_fp_ieee_underflow 0
		.amdhsa_exception_fp_ieee_inexact 0
		.amdhsa_exception_int_div_zero 0
	.end_amdhsa_kernel
	.text
.Lfunc_end0:
	.size	fft_rtc_fwd_len4096_factors_8_16_4_8_wgs_256_tpt_128_halfLds_dim3_sp_op_CI_CI_unitstride_sbrr_dirReg, .Lfunc_end0-fft_rtc_fwd_len4096_factors_8_16_4_8_wgs_256_tpt_128_halfLds_dim3_sp_op_CI_CI_unitstride_sbrr_dirReg
                                        ; -- End function
	.section	.AMDGPU.csdata,"",@progbits
; Kernel info:
; codeLenInByte = 13288
; NumSgprs: 20
; NumVgprs: 137
; ScratchSize: 0
; MemoryBound: 0
; FloatMode: 240
; IeeeMode: 1
; LDSByteSize: 0 bytes/workgroup (compile time only)
; SGPRBlocks: 2
; VGPRBlocks: 17
; NumSGPRsForWavesPerEU: 20
; NumVGPRsForWavesPerEU: 137
; Occupancy: 10
; WaveLimiterHint : 1
; COMPUTE_PGM_RSRC2:SCRATCH_EN: 0
; COMPUTE_PGM_RSRC2:USER_SGPR: 2
; COMPUTE_PGM_RSRC2:TRAP_HANDLER: 0
; COMPUTE_PGM_RSRC2:TGID_X_EN: 1
; COMPUTE_PGM_RSRC2:TGID_Y_EN: 0
; COMPUTE_PGM_RSRC2:TGID_Z_EN: 0
; COMPUTE_PGM_RSRC2:TIDIG_COMP_CNT: 0
	.text
	.p2alignl 7, 3214868480
	.fill 96, 4, 3214868480
	.type	__hip_cuid_7df0bca037b1a4b7,@object ; @__hip_cuid_7df0bca037b1a4b7
	.section	.bss,"aw",@nobits
	.globl	__hip_cuid_7df0bca037b1a4b7
__hip_cuid_7df0bca037b1a4b7:
	.byte	0                               ; 0x0
	.size	__hip_cuid_7df0bca037b1a4b7, 1

	.ident	"AMD clang version 19.0.0git (https://github.com/RadeonOpenCompute/llvm-project roc-6.4.0 25133 c7fe45cf4b819c5991fe208aaa96edf142730f1d)"
	.section	".note.GNU-stack","",@progbits
	.addrsig
	.addrsig_sym __hip_cuid_7df0bca037b1a4b7
	.amdgpu_metadata
---
amdhsa.kernels:
  - .args:
      - .actual_access:  read_only
        .address_space:  global
        .offset:         0
        .size:           8
        .value_kind:     global_buffer
      - .actual_access:  read_only
        .address_space:  global
        .offset:         8
        .size:           8
        .value_kind:     global_buffer
      - .actual_access:  read_only
        .address_space:  global
        .offset:         16
        .size:           8
        .value_kind:     global_buffer
      - .actual_access:  read_only
        .address_space:  global
        .offset:         24
        .size:           8
        .value_kind:     global_buffer
      - .offset:         32
        .size:           8
        .value_kind:     by_value
      - .actual_access:  read_only
        .address_space:  global
        .offset:         40
        .size:           8
        .value_kind:     global_buffer
      - .actual_access:  read_only
        .address_space:  global
        .offset:         48
        .size:           8
        .value_kind:     global_buffer
      - .offset:         56
        .size:           4
        .value_kind:     by_value
      - .actual_access:  read_only
        .address_space:  global
        .offset:         64
        .size:           8
        .value_kind:     global_buffer
      - .actual_access:  read_only
        .address_space:  global
        .offset:         72
        .size:           8
        .value_kind:     global_buffer
      - .actual_access:  read_only
        .address_space:  global
        .offset:         80
        .size:           8
        .value_kind:     global_buffer
      - .actual_access:  write_only
        .address_space:  global
        .offset:         88
        .size:           8
        .value_kind:     global_buffer
    .group_segment_fixed_size: 0
    .kernarg_segment_align: 8
    .kernarg_segment_size: 96
    .language:       OpenCL C
    .language_version:
      - 2
      - 0
    .max_flat_workgroup_size: 256
    .name:           fft_rtc_fwd_len4096_factors_8_16_4_8_wgs_256_tpt_128_halfLds_dim3_sp_op_CI_CI_unitstride_sbrr_dirReg
    .private_segment_fixed_size: 0
    .sgpr_count:     20
    .sgpr_spill_count: 0
    .symbol:         fft_rtc_fwd_len4096_factors_8_16_4_8_wgs_256_tpt_128_halfLds_dim3_sp_op_CI_CI_unitstride_sbrr_dirReg.kd
    .uniform_work_group_size: 1
    .uses_dynamic_stack: false
    .vgpr_count:     137
    .vgpr_spill_count: 0
    .wavefront_size: 32
    .workgroup_processor_mode: 1
amdhsa.target:   amdgcn-amd-amdhsa--gfx1201
amdhsa.version:
  - 1
  - 2
...

	.end_amdgpu_metadata
